;; amdgpu-corpus repo=pytorch/pytorch kind=compiled arch=gfx1100 opt=O3
	.text
	.amdgcn_target "amdgcn-amd-amdhsa--gfx1100"
	.amdhsa_code_object_version 6
	.section	.text._ZN2at6native28rrelu_with_noise_cuda_kernelIdLi2EZNS0_28_rrelu_with_noise_cuda_trainIdEEvRNS_6TensorERKS3_S4_RKN3c106ScalarESA_St8optionalINS_9GeneratorEEEUlP25hiprandStatePhilox4_32_10E_EEviNS_15PhiloxCudaStateEPT_PKSI_SJ_ddRKT1_,"axG",@progbits,_ZN2at6native28rrelu_with_noise_cuda_kernelIdLi2EZNS0_28_rrelu_with_noise_cuda_trainIdEEvRNS_6TensorERKS3_S4_RKN3c106ScalarESA_St8optionalINS_9GeneratorEEEUlP25hiprandStatePhilox4_32_10E_EEviNS_15PhiloxCudaStateEPT_PKSI_SJ_ddRKT1_,comdat
	.protected	_ZN2at6native28rrelu_with_noise_cuda_kernelIdLi2EZNS0_28_rrelu_with_noise_cuda_trainIdEEvRNS_6TensorERKS3_S4_RKN3c106ScalarESA_St8optionalINS_9GeneratorEEEUlP25hiprandStatePhilox4_32_10E_EEviNS_15PhiloxCudaStateEPT_PKSI_SJ_ddRKT1_ ; -- Begin function _ZN2at6native28rrelu_with_noise_cuda_kernelIdLi2EZNS0_28_rrelu_with_noise_cuda_trainIdEEvRNS_6TensorERKS3_S4_RKN3c106ScalarESA_St8optionalINS_9GeneratorEEEUlP25hiprandStatePhilox4_32_10E_EEviNS_15PhiloxCudaStateEPT_PKSI_SJ_ddRKT1_
	.globl	_ZN2at6native28rrelu_with_noise_cuda_kernelIdLi2EZNS0_28_rrelu_with_noise_cuda_trainIdEEvRNS_6TensorERKS3_S4_RKN3c106ScalarESA_St8optionalINS_9GeneratorEEEUlP25hiprandStatePhilox4_32_10E_EEviNS_15PhiloxCudaStateEPT_PKSI_SJ_ddRKT1_
	.p2align	8
	.type	_ZN2at6native28rrelu_with_noise_cuda_kernelIdLi2EZNS0_28_rrelu_with_noise_cuda_trainIdEEvRNS_6TensorERKS3_S4_RKN3c106ScalarESA_St8optionalINS_9GeneratorEEEUlP25hiprandStatePhilox4_32_10E_EEviNS_15PhiloxCudaStateEPT_PKSI_SJ_ddRKT1_,@function
_ZN2at6native28rrelu_with_noise_cuda_kernelIdLi2EZNS0_28_rrelu_with_noise_cuda_trainIdEEvRNS_6TensorERKS3_S4_RKN3c106ScalarESA_St8optionalINS_9GeneratorEEEUlP25hiprandStatePhilox4_32_10E_EEviNS_15PhiloxCudaStateEPT_PKSI_SJ_ddRKT1_: ; @_ZN2at6native28rrelu_with_noise_cuda_kernelIdLi2EZNS0_28_rrelu_with_noise_cuda_trainIdEEvRNS_6TensorERKS3_S4_RKN3c106ScalarESA_St8optionalINS_9GeneratorEEEUlP25hiprandStatePhilox4_32_10E_EEviNS_15PhiloxCudaStateEPT_PKSI_SJ_ddRKT1_
; %bb.0:
	s_clause 0x1
	s_load_b128 s[4:7], s[0:1], 0x8
	s_load_b32 s2, s[0:1], 0x20
	s_waitcnt lgkmcnt(0)
	v_dual_mov_b32 v1, s6 :: v_dual_mov_b32 v2, s7
	v_dual_mov_b32 v13, s5 :: v_dual_mov_b32 v12, s4
	s_bitcmp0_b32 s2, 0
	s_cbranch_scc1 .LBB0_2
; %bb.1:
	v_dual_mov_b32 v1, s6 :: v_dual_mov_b32 v2, s7
	v_dual_mov_b32 v3, s4 :: v_dual_mov_b32 v4, s5
	s_load_b64 s[2:3], s[0:1], 0x18
	flat_load_b64 v[1:2], v[1:2]
	flat_load_b64 v[12:13], v[3:4]
	s_waitcnt vmcnt(1) lgkmcnt(0)
	v_add_co_u32 v1, vcc_lo, v1, s2
	v_add_co_ci_u32_e32 v2, vcc_lo, s3, v2, vcc_lo
.LBB0_2:
	s_clause 0x2
	s_load_b32 s2, s[0:1], 0x64
	s_load_b32 s16, s[0:1], 0x58
	;; [unrolled: 1-line block ×3, first 2 shown]
	s_waitcnt lgkmcnt(0)
	s_and_b32 s14, s2, 0xffff
	s_add_i32 s7, s3, -1
	s_mul_i32 s2, s16, s14
	s_abs_i32 s8, s7
	s_lshl_b32 s2, s2, 1
	s_mul_i32 s12, s15, s14
	s_abs_i32 s4, s2
	v_add_nc_u32_e32 v19, s12, v0
	v_cvt_f32_u32_e32 v3, s4
	s_sub_i32 s6, 0, s4
	s_delay_alu instid0(VALU_DEP_1) | instskip(SKIP_2) | instid1(VALU_DEP_1)
	v_rcp_iflag_f32_e32 v3, v3
	s_waitcnt_depctr 0xfff
	v_mul_f32_e32 v3, 0x4f7ffffe, v3
	v_cvt_u32_f32_e32 v3, v3
	s_delay_alu instid0(VALU_DEP_1) | instskip(NEXT) | instid1(VALU_DEP_1)
	v_readfirstlane_b32 s5, v3
	s_mul_i32 s6, s6, s5
	s_delay_alu instid0(SALU_CYCLE_1) | instskip(NEXT) | instid1(SALU_CYCLE_1)
	s_mul_hi_u32 s6, s5, s6
	s_add_i32 s5, s5, s6
	s_xor_b32 s6, s7, s2
	s_mul_hi_u32 s5, s8, s5
	s_ashr_i32 s6, s6, 31
	s_mul_i32 s7, s5, s4
	s_delay_alu instid0(SALU_CYCLE_1)
	s_sub_i32 s7, s8, s7
	s_add_i32 s8, s5, 1
	s_sub_i32 s9, s7, s4
	s_cmp_ge_u32 s7, s4
	s_cselect_b32 s5, s8, s5
	s_cselect_b32 s7, s9, s7
	s_add_i32 s8, s5, 1
	s_cmp_ge_u32 s7, s4
	s_cselect_b32 s4, s8, s5
	s_delay_alu instid0(SALU_CYCLE_1) | instskip(NEXT) | instid1(SALU_CYCLE_1)
	s_xor_b32 s4, s4, s6
	s_sub_i32 s4, s4, s6
	s_delay_alu instid0(SALU_CYCLE_1) | instskip(NEXT) | instid1(SALU_CYCLE_1)
	s_add_i32 s4, s4, 1
	s_mul_i32 s13, s2, s4
	s_mov_b32 s4, exec_lo
	v_cmpx_gt_i32_e64 s13, v19
	s_cbranch_execz .LBB0_23
; %bb.3:
	v_alignbit_b32 v20, v2, v1, 2
	v_mad_u64_u32 v[5:6], null, 0xcd9e8d57, v19, 0
	v_lshrrev_b32_e32 v21, 2, v2
	v_ashrrev_i32_e32 v22, 31, v19
	s_delay_alu instid0(VALU_DEP_4) | instskip(SKIP_4) | instid1(VALU_DEP_4)
	v_mad_u64_u32 v[3:4], null, 0xd2511f53, v20, 0
	s_waitcnt vmcnt(0)
	v_dual_mov_b32 v10, v13 :: v_dual_add_nc_u32 v39, 0x8ff34781, v12
	v_add_co_u32 v24, null, 0x9e3779b9, v12
	v_add_co_u32 v25, null, 0x3c6ef372, v12
	v_xor_b32_e32 v2, v4, v13
	v_xor3_b32 v4, v12, v6, v21
	v_add_co_u32 v23, null, 0xbb67ae85, v10
	v_add_co_u32 v26, null, 0x76cf5d0a, v10
	s_delay_alu instid0(VALU_DEP_4) | instskip(NEXT) | instid1(VALU_DEP_4)
	v_xor_b32_e32 v2, v2, v22
	v_mad_u64_u32 v[6:7], null, 0xd2511f53, v4, 0
	v_add_co_u32 v27, null, 0x32370b8f, v10
	s_delay_alu instid0(VALU_DEP_3) | instskip(SKIP_1) | instid1(VALU_DEP_4)
	v_mad_u64_u32 v[8:9], null, 0xcd9e8d57, v2, 0
	v_add_co_u32 v28, null, 0xdaa66d2b, v12
	v_xor3_b32 v4, v23, v7, v3
	v_add_co_u32 v29, null, 0x78dde6e4, v12
	v_add_co_u32 v30, null, 0xed9eba14, v10
	v_xor3_b32 v7, v24, v9, v5
	s_delay_alu instid0(VALU_DEP_4) | instskip(SKIP_1) | instid1(VALU_DEP_3)
	v_mad_u64_u32 v[2:3], null, 0xcd9e8d57, v4, 0
	v_add_co_u32 v31, null, 0xa9066899, v10
	v_mad_u64_u32 v[4:5], null, 0xd2511f53, v7, 0
	v_add_co_u32 v32, null, 0x1715609d, v12
	s_delay_alu instid0(VALU_DEP_4) | instskip(SKIP_4) | instid1(VALU_DEP_4)
	v_xor3_b32 v3, v25, v3, v8
	s_clause 0x1
	s_load_b256 s[4:11], s[0:1], 0x28
	s_load_b64 s[0:1], s[0:1], 0x48
	v_add_co_u32 v33, null, 0x646e171e, v10
	v_xor3_b32 v9, v26, v5, v6
	v_mad_u64_u32 v[5:6], null, 0xd2511f53, v3, 0
	v_add_co_u32 v34, null, 0xb54cda56, v12
	s_delay_alu instid0(VALU_DEP_3) | instskip(SKIP_1) | instid1(VALU_DEP_4)
	v_mad_u64_u32 v[7:8], null, 0xcd9e8d57, v9, 0
	v_add_co_u32 v35, null, 0x5384540f, v12
	v_xor3_b32 v4, v27, v6, v4
	v_add_co_u32 v36, null, 0x1fd5c5a3, v10
	v_add_co_u32 v37, null, 0xdb3d7428, v10
	v_xor3_b32 v6, v28, v8, v2
	s_delay_alu instid0(VALU_DEP_4)
	v_mad_u64_u32 v[2:3], null, 0xcd9e8d57, v4, 0
	s_waitcnt lgkmcnt(0)
	v_add_f64 v[14:15], s[0:1], -s[10:11]
	v_add_co_u32 v38, null, 0xf1bbcdc8, v12
	v_mad_u64_u32 v[8:9], null, 0xd2511f53, v6, 0
	v_add_nc_u32_e32 v40, 0x96a522ad, v13
	v_xor3_b32 v6, v29, v3, v7
	s_add_i32 s1, s15, s16
	s_mov_b32 s0, 0
	s_mul_i32 s1, s1, s14
	s_delay_alu instid0(VALU_DEP_3) | instskip(SKIP_1) | instid1(VALU_DEP_2)
	v_xor3_b32 v7, v30, v9, v5
	v_mad_u64_u32 v[3:4], null, 0xd2511f53, v6, 0
	v_mad_u64_u32 v[5:6], null, 0xcd9e8d57, v7, 0
	s_delay_alu instid0(VALU_DEP_2) | instskip(NEXT) | instid1(VALU_DEP_2)
	v_xor3_b32 v4, v31, v4, v8
	v_xor3_b32 v2, v32, v6, v2
	s_delay_alu instid0(VALU_DEP_2) | instskip(NEXT) | instid1(VALU_DEP_2)
	v_mad_u64_u32 v[6:7], null, 0xcd9e8d57, v4, 0
	v_mad_u64_u32 v[8:9], null, 0xd2511f53, v2, 0
	s_delay_alu instid0(VALU_DEP_2) | instskip(NEXT) | instid1(VALU_DEP_2)
	v_xor3_b32 v7, v34, v7, v5
	v_xor3_b32 v4, v33, v9, v3
	s_delay_alu instid0(VALU_DEP_1) | instskip(NEXT) | instid1(VALU_DEP_3)
	v_mad_u64_u32 v[2:3], null, 0xcd9e8d57, v4, 0
	v_mad_u64_u32 v[4:5], null, 0xd2511f53, v7, 0
	s_delay_alu instid0(VALU_DEP_2) | instskip(NEXT) | instid1(VALU_DEP_2)
	v_xor3_b32 v3, v35, v3, v6
	v_xor3_b32 v9, v36, v5, v8
	s_delay_alu instid0(VALU_DEP_2) | instskip(NEXT) | instid1(VALU_DEP_2)
	v_mad_u64_u32 v[5:6], null, 0xd2511f53, v3, 0
	v_mad_u64_u32 v[7:8], null, 0xcd9e8d57, v9, 0
	s_delay_alu instid0(VALU_DEP_2) | instskip(NEXT) | instid1(VALU_DEP_2)
	v_xor3_b32 v4, v37, v6, v4
	v_xor3_b32 v6, v38, v8, v2
	s_delay_alu instid0(VALU_DEP_2) | instskip(NEXT) | instid1(VALU_DEP_2)
	v_mad_u64_u32 v[2:3], null, 0xcd9e8d57, v4, 0
	v_mad_u64_u32 v[8:9], null, 0xd2511f53, v6, 0
	v_and_b32_e32 v41, 3, v1
	s_delay_alu instid0(VALU_DEP_3) | instskip(NEXT) | instid1(VALU_DEP_3)
	v_xor3_b32 v1, v3, v7, v39
	v_mov_b32_e32 v4, v8
	s_delay_alu instid0(VALU_DEP_4)
	v_xor3_b32 v3, v9, v5, v40
	s_branch .LBB0_6
.LBB0_4:                                ;   in Loop: Header=BB0_6 Depth=1
	s_or_b32 exec_lo, exec_lo, s15
	v_add_co_u32 v3, vcc_lo, s4, v1
	v_add_co_ci_u32_e32 v4, vcc_lo, s5, v2, vcc_lo
	v_add_co_u32 v1, vcc_lo, s8, v1
	v_add_co_ci_u32_e32 v2, vcc_lo, s9, v2, vcc_lo
	global_store_b64 v[3:4], v[8:9], off
	global_store_b64 v[1:2], v[10:11], off
.LBB0_5:                                ;   in Loop: Header=BB0_6 Depth=1
	s_or_b32 exec_lo, exec_lo, s14
	v_mov_b32_e32 v8, v16
	v_add_nc_u32_e32 v0, s2, v0
	s_waitcnt_vscnt null, 0x0
	s_barrier
	buffer_gl0_inv
	v_add_nc_u32_e32 v1, s12, v0
	s_delay_alu instid0(VALU_DEP_1) | instskip(SKIP_3) | instid1(SALU_CYCLE_1)
	v_cmp_le_i32_e32 vcc_lo, s13, v1
	v_dual_mov_b32 v1, v5 :: v_dual_mov_b32 v2, v6
	v_dual_mov_b32 v3, v7 :: v_dual_mov_b32 v4, v8
	s_or_b32 s0, vcc_lo, s0
	s_and_not1_b32 exec_lo, exec_lo, s0
	s_cbranch_execz .LBB0_23
.LBB0_6:                                ; =>This Inner Loop Header: Depth=1
	v_add_co_u32 v20, vcc_lo, v20, 1
	s_delay_alu instid0(VALU_DEP_1) | instskip(SKIP_2) | instid1(VALU_DEP_1)
	v_cndmask_b32_e64 v5, 0, 1, vcc_lo
	v_add_co_ci_u32_e32 v21, vcc_lo, 0, v21, vcc_lo
	s_mov_b32 s14, exec_lo
	v_cmp_eq_u32_e32 vcc_lo, 0, v21
	s_delay_alu instid0(VALU_DEP_3) | instskip(NEXT) | instid1(VALU_DEP_1)
	v_cndmask_b32_e32 v5, 0, v5, vcc_lo
	v_add_nc_u32_e32 v19, v5, v19
	s_delay_alu instid0(VALU_DEP_1) | instskip(SKIP_2) | instid1(VALU_DEP_2)
	v_cmp_eq_u32_e32 vcc_lo, 0, v19
	v_mad_u64_u32 v[7:8], null, 0xcd9e8d57, v19, 0
	v_cndmask_b32_e32 v5, 0, v5, vcc_lo
	v_xor3_b32 v10, v8, v12, v21
	s_delay_alu instid0(VALU_DEP_2) | instskip(SKIP_1) | instid1(VALU_DEP_3)
	v_add_nc_u32_e32 v22, v5, v22
	v_mad_u64_u32 v[5:6], null, 0xd2511f53, v20, 0
	v_mad_u64_u32 v[8:9], null, 0xd2511f53, v10, 0
	s_delay_alu instid0(VALU_DEP_2) | instskip(NEXT) | instid1(VALU_DEP_2)
	v_xor_b32_e32 v6, v6, v13
	v_xor3_b32 v9, v23, v9, v5
	s_delay_alu instid0(VALU_DEP_2) | instskip(NEXT) | instid1(VALU_DEP_1)
	v_xor_b32_e32 v6, v22, v6
	v_mad_u64_u32 v[10:11], null, 0xcd9e8d57, v6, 0
	s_delay_alu instid0(VALU_DEP_3) | instskip(NEXT) | instid1(VALU_DEP_2)
	v_mad_u64_u32 v[5:6], null, 0xcd9e8d57, v9, 0
	v_xor3_b32 v7, v24, v11, v7
	s_delay_alu instid0(VALU_DEP_2) | instskip(NEXT) | instid1(VALU_DEP_2)
	v_xor3_b32 v9, v25, v6, v10
	v_mad_u64_u32 v[16:17], null, 0xd2511f53, v7, 0
	s_delay_alu instid0(VALU_DEP_2) | instskip(NEXT) | instid1(VALU_DEP_2)
	v_mad_u64_u32 v[6:7], null, 0xd2511f53, v9, 0
	v_xor3_b32 v10, v26, v17, v8
	s_delay_alu instid0(VALU_DEP_2) | instskip(NEXT) | instid1(VALU_DEP_2)
	v_xor3_b32 v7, v27, v7, v16
	v_mad_u64_u32 v[8:9], null, 0xcd9e8d57, v10, 0
	s_delay_alu instid0(VALU_DEP_1) | instskip(NEXT) | instid1(VALU_DEP_3)
	v_xor3_b32 v5, v28, v9, v5
	v_mad_u64_u32 v[9:10], null, 0xcd9e8d57, v7, 0
	s_delay_alu instid0(VALU_DEP_2) | instskip(NEXT) | instid1(VALU_DEP_2)
	v_mad_u64_u32 v[16:17], null, 0xd2511f53, v5, 0
	v_xor3_b32 v7, v29, v10, v8
	s_delay_alu instid0(VALU_DEP_2) | instskip(NEXT) | instid1(VALU_DEP_2)
	v_xor3_b32 v10, v30, v17, v6
	v_mad_u64_u32 v[5:6], null, 0xd2511f53, v7, 0
	s_delay_alu instid0(VALU_DEP_2) | instskip(NEXT) | instid1(VALU_DEP_2)
	v_mad_u64_u32 v[7:8], null, 0xcd9e8d57, v10, 0
	v_xor3_b32 v6, v31, v6, v16
	s_delay_alu instid0(VALU_DEP_2) | instskip(NEXT) | instid1(VALU_DEP_2)
	;; [unrolled: 6-line block ×6, first 2 shown]
	v_xor3_b32 v5, v7, v8, v39
	v_mov_b32_e32 v7, v11
	v_cmpx_lt_i32_e32 1, v41
	s_xor_b32 s14, exec_lo, s14
	s_cbranch_execz .LBB0_12
; %bb.7:                                ;   in Loop: Header=BB0_6 Depth=1
	s_mov_b32 s15, exec_lo
	v_cmpx_lt_i32_e32 2, v41
	s_xor_b32 s15, exec_lo, s15
; %bb.8:                                ;   in Loop: Header=BB0_6 Depth=1
	v_dual_mov_b32 v8, v4 :: v_dual_mov_b32 v9, v5
	v_mov_b32_e32 v10, v6
	s_delay_alu instid0(VALU_DEP_2) | instskip(NEXT) | instid1(VALU_DEP_2)
	v_dual_mov_b32 v1, v8 :: v_dual_mov_b32 v2, v9
	v_dual_mov_b32 v3, v10 :: v_dual_mov_b32 v4, v11
; %bb.9:                                ;   in Loop: Header=BB0_6 Depth=1
	s_and_not1_saveexec_b32 s15, s15
; %bb.10:                               ;   in Loop: Header=BB0_6 Depth=1
	s_delay_alu instid0(VALU_DEP_1)
	v_dual_mov_b32 v1, v3 :: v_dual_mov_b32 v2, v4
	v_dual_mov_b32 v3, v5 :: v_dual_mov_b32 v4, v6
; %bb.11:                               ;   in Loop: Header=BB0_6 Depth=1
	s_or_b32 exec_lo, exec_lo, s15
.LBB0_12:                               ;   in Loop: Header=BB0_6 Depth=1
	s_and_not1_saveexec_b32 s14, s14
	s_cbranch_execz .LBB0_16
; %bb.13:                               ;   in Loop: Header=BB0_6 Depth=1
	s_mov_b32 s15, exec_lo
	v_cmpx_eq_u32_e32 1, v41
; %bb.14:                               ;   in Loop: Header=BB0_6 Depth=1
	v_dual_mov_b32 v1, v2 :: v_dual_mov_b32 v2, v3
	v_dual_mov_b32 v3, v4 :: v_dual_mov_b32 v4, v5
; %bb.15:                               ;   in Loop: Header=BB0_6 Depth=1
	s_or_b32 exec_lo, exec_lo, s15
.LBB0_16:                               ;   in Loop: Header=BB0_6 Depth=1
	s_delay_alu instid0(SALU_CYCLE_1) | instskip(SKIP_2) | instid1(VALU_DEP_1)
	s_or_b32 exec_lo, exec_lo, s14
	v_add_nc_u32_e32 v8, s12, v0
	s_mov_b32 s14, exec_lo
	v_cmpx_gt_i32_e64 s3, v8
	s_cbranch_execz .LBB0_20
; %bb.17:                               ;   in Loop: Header=BB0_6 Depth=1
	v_ashrrev_i32_e32 v9, 31, v8
	v_mov_b32_e32 v17, 0
	v_mov_b32_e32 v18, 0x3ff00000
	s_mov_b32 s15, exec_lo
	s_delay_alu instid0(VALU_DEP_3) | instskip(NEXT) | instid1(VALU_DEP_1)
	v_lshlrev_b64 v[8:9], 3, v[8:9]
	v_add_co_u32 v10, vcc_lo, s6, v8
	s_delay_alu instid0(VALU_DEP_2)
	v_add_co_ci_u32_e32 v11, vcc_lo, s7, v9, vcc_lo
	global_load_b64 v[10:11], v[10:11], off
	s_waitcnt vmcnt(0)
	v_cmpx_ge_f64_e32 0, v[10:11]
; %bb.18:                               ;   in Loop: Header=BB0_6 Depth=1
	v_lshrrev_b32_e32 v2, 11, v2
	s_delay_alu instid0(VALU_DEP_1) | instskip(SKIP_1) | instid1(VALU_DEP_2)
	v_cvt_f64_u32_e32 v[17:18], v2
	v_cvt_f64_u32_e32 v[1:2], v1
	v_ldexp_f64 v[17:18], v[17:18], 32
	s_delay_alu instid0(VALU_DEP_1) | instskip(NEXT) | instid1(VALU_DEP_1)
	v_add_f64 v[1:2], v[17:18], v[1:2]
	v_fma_f64 v[1:2], 0x3ca00000, v[1:2], 0x3ca00000
	s_delay_alu instid0(VALU_DEP_1) | instskip(NEXT) | instid1(VALU_DEP_1)
	v_fma_f64 v[17:18], v[14:15], v[1:2], s[10:11]
	v_mul_f64 v[10:11], v[10:11], v[17:18]
; %bb.19:                               ;   in Loop: Header=BB0_6 Depth=1
	s_or_b32 exec_lo, exec_lo, s15
	v_add_co_u32 v1, vcc_lo, s4, v8
	v_add_co_ci_u32_e32 v2, vcc_lo, s5, v9, vcc_lo
	v_add_co_u32 v8, vcc_lo, s8, v8
	v_add_co_ci_u32_e32 v9, vcc_lo, s9, v9, vcc_lo
	global_store_b64 v[1:2], v[10:11], off
	global_store_b64 v[8:9], v[17:18], off
.LBB0_20:                               ;   in Loop: Header=BB0_6 Depth=1
	s_or_b32 exec_lo, exec_lo, s14
	v_add_nc_u32_e32 v1, s1, v0
	s_mov_b32 s14, exec_lo
	s_delay_alu instid0(VALU_DEP_1)
	v_cmpx_gt_i32_e64 s3, v1
	s_cbranch_execz .LBB0_5
; %bb.21:                               ;   in Loop: Header=BB0_6 Depth=1
	v_ashrrev_i32_e32 v2, 31, v1
	v_mov_b32_e32 v10, 0
	v_mov_b32_e32 v11, 0x3ff00000
	s_mov_b32 s15, exec_lo
	s_delay_alu instid0(VALU_DEP_3) | instskip(NEXT) | instid1(VALU_DEP_1)
	v_lshlrev_b64 v[1:2], 3, v[1:2]
	v_add_co_u32 v8, vcc_lo, s6, v1
	s_delay_alu instid0(VALU_DEP_2)
	v_add_co_ci_u32_e32 v9, vcc_lo, s7, v2, vcc_lo
	global_load_b64 v[8:9], v[8:9], off
	s_waitcnt vmcnt(0)
	v_cmpx_ge_f64_e32 0, v[8:9]
	s_cbranch_execz .LBB0_4
; %bb.22:                               ;   in Loop: Header=BB0_6 Depth=1
	v_lshrrev_b32_e32 v4, 11, v4
	s_delay_alu instid0(VALU_DEP_1) | instskip(SKIP_1) | instid1(VALU_DEP_2)
	v_cvt_f64_u32_e32 v[10:11], v4
	v_cvt_f64_u32_e32 v[3:4], v3
	v_ldexp_f64 v[10:11], v[10:11], 32
	s_delay_alu instid0(VALU_DEP_1) | instskip(NEXT) | instid1(VALU_DEP_1)
	v_add_f64 v[3:4], v[10:11], v[3:4]
	v_fma_f64 v[3:4], 0x3ca00000, v[3:4], 0x3ca00000
	s_delay_alu instid0(VALU_DEP_1) | instskip(NEXT) | instid1(VALU_DEP_1)
	v_fma_f64 v[10:11], v[14:15], v[3:4], s[10:11]
	v_mul_f64 v[8:9], v[8:9], v[10:11]
	s_branch .LBB0_4
.LBB0_23:
	s_endpgm
	.section	.rodata,"a",@progbits
	.p2align	6, 0x0
	.amdhsa_kernel _ZN2at6native28rrelu_with_noise_cuda_kernelIdLi2EZNS0_28_rrelu_with_noise_cuda_trainIdEEvRNS_6TensorERKS3_S4_RKN3c106ScalarESA_St8optionalINS_9GeneratorEEEUlP25hiprandStatePhilox4_32_10E_EEviNS_15PhiloxCudaStateEPT_PKSI_SJ_ddRKT1_
		.amdhsa_group_segment_fixed_size 0
		.amdhsa_private_segment_fixed_size 0
		.amdhsa_kernarg_size 344
		.amdhsa_user_sgpr_count 15
		.amdhsa_user_sgpr_dispatch_ptr 0
		.amdhsa_user_sgpr_queue_ptr 0
		.amdhsa_user_sgpr_kernarg_segment_ptr 1
		.amdhsa_user_sgpr_dispatch_id 0
		.amdhsa_user_sgpr_private_segment_size 0
		.amdhsa_wavefront_size32 1
		.amdhsa_uses_dynamic_stack 0
		.amdhsa_enable_private_segment 0
		.amdhsa_system_sgpr_workgroup_id_x 1
		.amdhsa_system_sgpr_workgroup_id_y 0
		.amdhsa_system_sgpr_workgroup_id_z 0
		.amdhsa_system_sgpr_workgroup_info 0
		.amdhsa_system_vgpr_workitem_id 0
		.amdhsa_next_free_vgpr 42
		.amdhsa_next_free_sgpr 17
		.amdhsa_reserve_vcc 1
		.amdhsa_float_round_mode_32 0
		.amdhsa_float_round_mode_16_64 0
		.amdhsa_float_denorm_mode_32 3
		.amdhsa_float_denorm_mode_16_64 3
		.amdhsa_dx10_clamp 1
		.amdhsa_ieee_mode 1
		.amdhsa_fp16_overflow 0
		.amdhsa_workgroup_processor_mode 1
		.amdhsa_memory_ordered 1
		.amdhsa_forward_progress 0
		.amdhsa_shared_vgpr_count 0
		.amdhsa_exception_fp_ieee_invalid_op 0
		.amdhsa_exception_fp_denorm_src 0
		.amdhsa_exception_fp_ieee_div_zero 0
		.amdhsa_exception_fp_ieee_overflow 0
		.amdhsa_exception_fp_ieee_underflow 0
		.amdhsa_exception_fp_ieee_inexact 0
		.amdhsa_exception_int_div_zero 0
	.end_amdhsa_kernel
	.section	.text._ZN2at6native28rrelu_with_noise_cuda_kernelIdLi2EZNS0_28_rrelu_with_noise_cuda_trainIdEEvRNS_6TensorERKS3_S4_RKN3c106ScalarESA_St8optionalINS_9GeneratorEEEUlP25hiprandStatePhilox4_32_10E_EEviNS_15PhiloxCudaStateEPT_PKSI_SJ_ddRKT1_,"axG",@progbits,_ZN2at6native28rrelu_with_noise_cuda_kernelIdLi2EZNS0_28_rrelu_with_noise_cuda_trainIdEEvRNS_6TensorERKS3_S4_RKN3c106ScalarESA_St8optionalINS_9GeneratorEEEUlP25hiprandStatePhilox4_32_10E_EEviNS_15PhiloxCudaStateEPT_PKSI_SJ_ddRKT1_,comdat
.Lfunc_end0:
	.size	_ZN2at6native28rrelu_with_noise_cuda_kernelIdLi2EZNS0_28_rrelu_with_noise_cuda_trainIdEEvRNS_6TensorERKS3_S4_RKN3c106ScalarESA_St8optionalINS_9GeneratorEEEUlP25hiprandStatePhilox4_32_10E_EEviNS_15PhiloxCudaStateEPT_PKSI_SJ_ddRKT1_, .Lfunc_end0-_ZN2at6native28rrelu_with_noise_cuda_kernelIdLi2EZNS0_28_rrelu_with_noise_cuda_trainIdEEvRNS_6TensorERKS3_S4_RKN3c106ScalarESA_St8optionalINS_9GeneratorEEEUlP25hiprandStatePhilox4_32_10E_EEviNS_15PhiloxCudaStateEPT_PKSI_SJ_ddRKT1_
                                        ; -- End function
	.section	.AMDGPU.csdata,"",@progbits
; Kernel info:
; codeLenInByte = 2236
; NumSgprs: 19
; NumVgprs: 42
; ScratchSize: 0
; MemoryBound: 0
; FloatMode: 240
; IeeeMode: 1
; LDSByteSize: 0 bytes/workgroup (compile time only)
; SGPRBlocks: 2
; VGPRBlocks: 5
; NumSGPRsForWavesPerEU: 19
; NumVGPRsForWavesPerEU: 42
; Occupancy: 16
; WaveLimiterHint : 0
; COMPUTE_PGM_RSRC2:SCRATCH_EN: 0
; COMPUTE_PGM_RSRC2:USER_SGPR: 15
; COMPUTE_PGM_RSRC2:TRAP_HANDLER: 0
; COMPUTE_PGM_RSRC2:TGID_X_EN: 1
; COMPUTE_PGM_RSRC2:TGID_Y_EN: 0
; COMPUTE_PGM_RSRC2:TGID_Z_EN: 0
; COMPUTE_PGM_RSRC2:TIDIG_COMP_CNT: 0
	.section	.text._ZN2at6native28rrelu_with_noise_cuda_kernelIdLi4EZNS0_28_rrelu_with_noise_cuda_trainIdEEvRNS_6TensorERKS3_S4_RKN3c106ScalarESA_St8optionalINS_9GeneratorEEEUlP25hiprandStatePhilox4_32_10E0_EEviNS_15PhiloxCudaStateEPT_PKSI_SJ_ddRKT1_,"axG",@progbits,_ZN2at6native28rrelu_with_noise_cuda_kernelIdLi4EZNS0_28_rrelu_with_noise_cuda_trainIdEEvRNS_6TensorERKS3_S4_RKN3c106ScalarESA_St8optionalINS_9GeneratorEEEUlP25hiprandStatePhilox4_32_10E0_EEviNS_15PhiloxCudaStateEPT_PKSI_SJ_ddRKT1_,comdat
	.protected	_ZN2at6native28rrelu_with_noise_cuda_kernelIdLi4EZNS0_28_rrelu_with_noise_cuda_trainIdEEvRNS_6TensorERKS3_S4_RKN3c106ScalarESA_St8optionalINS_9GeneratorEEEUlP25hiprandStatePhilox4_32_10E0_EEviNS_15PhiloxCudaStateEPT_PKSI_SJ_ddRKT1_ ; -- Begin function _ZN2at6native28rrelu_with_noise_cuda_kernelIdLi4EZNS0_28_rrelu_with_noise_cuda_trainIdEEvRNS_6TensorERKS3_S4_RKN3c106ScalarESA_St8optionalINS_9GeneratorEEEUlP25hiprandStatePhilox4_32_10E0_EEviNS_15PhiloxCudaStateEPT_PKSI_SJ_ddRKT1_
	.globl	_ZN2at6native28rrelu_with_noise_cuda_kernelIdLi4EZNS0_28_rrelu_with_noise_cuda_trainIdEEvRNS_6TensorERKS3_S4_RKN3c106ScalarESA_St8optionalINS_9GeneratorEEEUlP25hiprandStatePhilox4_32_10E0_EEviNS_15PhiloxCudaStateEPT_PKSI_SJ_ddRKT1_
	.p2align	8
	.type	_ZN2at6native28rrelu_with_noise_cuda_kernelIdLi4EZNS0_28_rrelu_with_noise_cuda_trainIdEEvRNS_6TensorERKS3_S4_RKN3c106ScalarESA_St8optionalINS_9GeneratorEEEUlP25hiprandStatePhilox4_32_10E0_EEviNS_15PhiloxCudaStateEPT_PKSI_SJ_ddRKT1_,@function
_ZN2at6native28rrelu_with_noise_cuda_kernelIdLi4EZNS0_28_rrelu_with_noise_cuda_trainIdEEvRNS_6TensorERKS3_S4_RKN3c106ScalarESA_St8optionalINS_9GeneratorEEEUlP25hiprandStatePhilox4_32_10E0_EEviNS_15PhiloxCudaStateEPT_PKSI_SJ_ddRKT1_: ; @_ZN2at6native28rrelu_with_noise_cuda_kernelIdLi4EZNS0_28_rrelu_with_noise_cuda_trainIdEEvRNS_6TensorERKS3_S4_RKN3c106ScalarESA_St8optionalINS_9GeneratorEEEUlP25hiprandStatePhilox4_32_10E0_EEviNS_15PhiloxCudaStateEPT_PKSI_SJ_ddRKT1_
; %bb.0:
	s_clause 0x1
	s_load_b128 s[4:7], s[0:1], 0x8
	s_load_b32 s2, s[0:1], 0x20
	s_waitcnt lgkmcnt(0)
	v_dual_mov_b32 v1, s6 :: v_dual_mov_b32 v2, s7
	v_dual_mov_b32 v13, s5 :: v_dual_mov_b32 v12, s4
	s_bitcmp0_b32 s2, 0
	s_cbranch_scc1 .LBB1_2
; %bb.1:
	v_dual_mov_b32 v1, s6 :: v_dual_mov_b32 v2, s7
	v_dual_mov_b32 v3, s4 :: v_dual_mov_b32 v4, s5
	s_load_b64 s[2:3], s[0:1], 0x18
	flat_load_b64 v[1:2], v[1:2]
	flat_load_b64 v[12:13], v[3:4]
	s_waitcnt vmcnt(1) lgkmcnt(0)
	v_add_co_u32 v1, vcc_lo, v1, s2
	v_add_co_ci_u32_e32 v2, vcc_lo, s3, v2, vcc_lo
.LBB1_2:
	s_clause 0x2
	s_load_b32 s2, s[0:1], 0x64
	s_load_b32 s14, s[0:1], 0x58
	;; [unrolled: 1-line block ×3, first 2 shown]
	s_waitcnt lgkmcnt(0)
	s_and_b32 s16, s2, 0xffff
	s_add_i32 s7, s3, -1
	s_mul_i32 s2, s14, s16
	s_abs_i32 s8, s7
	s_lshl_b32 s2, s2, 2
	s_mul_i32 s12, s15, s16
	s_abs_i32 s4, s2
	v_add_nc_u32_e32 v19, s12, v0
	v_cvt_f32_u32_e32 v3, s4
	s_sub_i32 s6, 0, s4
	s_delay_alu instid0(VALU_DEP_1) | instskip(SKIP_2) | instid1(VALU_DEP_1)
	v_rcp_iflag_f32_e32 v3, v3
	s_waitcnt_depctr 0xfff
	v_mul_f32_e32 v3, 0x4f7ffffe, v3
	v_cvt_u32_f32_e32 v3, v3
	s_delay_alu instid0(VALU_DEP_1) | instskip(NEXT) | instid1(VALU_DEP_1)
	v_readfirstlane_b32 s5, v3
	s_mul_i32 s6, s6, s5
	s_delay_alu instid0(SALU_CYCLE_1) | instskip(NEXT) | instid1(SALU_CYCLE_1)
	s_mul_hi_u32 s6, s5, s6
	s_add_i32 s5, s5, s6
	s_xor_b32 s6, s7, s2
	s_mul_hi_u32 s5, s8, s5
	s_ashr_i32 s6, s6, 31
	s_mul_i32 s7, s5, s4
	s_delay_alu instid0(SALU_CYCLE_1)
	s_sub_i32 s7, s8, s7
	s_add_i32 s8, s5, 1
	s_sub_i32 s9, s7, s4
	s_cmp_ge_u32 s7, s4
	s_cselect_b32 s5, s8, s5
	s_cselect_b32 s7, s9, s7
	s_add_i32 s8, s5, 1
	s_cmp_ge_u32 s7, s4
	s_cselect_b32 s4, s8, s5
	s_delay_alu instid0(SALU_CYCLE_1) | instskip(NEXT) | instid1(SALU_CYCLE_1)
	s_xor_b32 s4, s4, s6
	s_sub_i32 s4, s4, s6
	s_delay_alu instid0(SALU_CYCLE_1) | instskip(NEXT) | instid1(SALU_CYCLE_1)
	s_add_i32 s4, s4, 1
	s_mul_i32 s13, s2, s4
	s_mov_b32 s4, exec_lo
	v_cmpx_gt_i32_e64 s13, v19
	s_cbranch_execz .LBB1_31
; %bb.3:
	v_alignbit_b32 v20, v2, v1, 2
	v_mad_u64_u32 v[5:6], null, 0xcd9e8d57, v19, 0
	v_lshrrev_b32_e32 v21, 2, v2
	v_ashrrev_i32_e32 v22, 31, v19
	s_delay_alu instid0(VALU_DEP_4) | instskip(SKIP_4) | instid1(VALU_DEP_4)
	v_mad_u64_u32 v[3:4], null, 0xd2511f53, v20, 0
	s_waitcnt vmcnt(0)
	v_dual_mov_b32 v10, v13 :: v_dual_and_b32 v39, 3, v1
	v_add_co_u32 v24, null, 0x9e3779b9, v12
	v_add_co_u32 v25, null, 0x3c6ef372, v12
	v_xor_b32_e32 v2, v4, v13
	v_xor3_b32 v4, v12, v6, v21
	v_add_co_u32 v23, null, 0xbb67ae85, v10
	v_add_co_u32 v26, null, 0x76cf5d0a, v10
	s_delay_alu instid0(VALU_DEP_4) | instskip(NEXT) | instid1(VALU_DEP_4)
	v_xor_b32_e32 v2, v2, v22
	v_mad_u64_u32 v[6:7], null, 0xd2511f53, v4, 0
	v_add_co_u32 v27, null, 0x32370b8f, v10
	s_delay_alu instid0(VALU_DEP_3) | instskip(SKIP_1) | instid1(VALU_DEP_4)
	v_mad_u64_u32 v[8:9], null, 0xcd9e8d57, v2, 0
	v_add_co_u32 v28, null, 0xdaa66d2b, v12
	v_xor3_b32 v4, v23, v7, v3
	v_add_co_u32 v29, null, 0x78dde6e4, v12
	v_add_co_u32 v30, null, 0xed9eba14, v10
	v_xor3_b32 v7, v24, v9, v5
	s_delay_alu instid0(VALU_DEP_4) | instskip(SKIP_1) | instid1(VALU_DEP_3)
	v_mad_u64_u32 v[2:3], null, 0xcd9e8d57, v4, 0
	v_add_co_u32 v31, null, 0xa9066899, v10
	v_mad_u64_u32 v[4:5], null, 0xd2511f53, v7, 0
	v_add_co_u32 v32, null, 0x1715609d, v12
	s_delay_alu instid0(VALU_DEP_4) | instskip(SKIP_4) | instid1(VALU_DEP_4)
	v_xor3_b32 v3, v25, v3, v8
	s_clause 0x1
	s_load_b256 s[4:11], s[0:1], 0x28
	s_load_b64 s[0:1], s[0:1], 0x48
	v_add_co_u32 v33, null, 0xb54cda56, v12
	v_xor3_b32 v9, v26, v5, v6
	v_mad_u64_u32 v[5:6], null, 0xd2511f53, v3, 0
	v_add_co_u32 v34, null, 0x646e171e, v10
	s_delay_alu instid0(VALU_DEP_3) | instskip(SKIP_1) | instid1(VALU_DEP_4)
	v_mad_u64_u32 v[7:8], null, 0xcd9e8d57, v9, 0
	v_add_co_u32 v35, null, 0x1fd5c5a3, v10
	v_xor3_b32 v4, v27, v6, v4
	v_add_co_u32 v36, null, 0x5384540f, v12
	v_add_co_u32 v37, null, 0xf1bbcdc8, v12
	v_xor3_b32 v6, v28, v8, v2
	s_delay_alu instid0(VALU_DEP_4)
	v_mad_u64_u32 v[2:3], null, 0xcd9e8d57, v4, 0
	s_waitcnt lgkmcnt(0)
	v_add_f64 v[14:15], s[0:1], -s[10:11]
	v_add_co_u32 v38, null, 0xdb3d7428, v10
	v_mad_u64_u32 v[8:9], null, 0xd2511f53, v6, 0
	v_add_nc_u32_e32 v40, 0x8ff34781, v12
	v_xor3_b32 v6, v29, v3, v7
	s_lshl_b32 s1, s14, 1
	s_mul_i32 s17, s14, 3
	s_add_i32 s1, s15, s1
	s_add_i32 s17, s15, s17
	s_delay_alu instid0(VALU_DEP_3) | instskip(SKIP_3) | instid1(VALU_DEP_2)
	v_xor3_b32 v7, v30, v9, v5
	v_mad_u64_u32 v[3:4], null, 0xd2511f53, v6, 0
	s_add_i32 s15, s15, s14
	s_mov_b32 s0, 0
	v_mad_u64_u32 v[5:6], null, 0xcd9e8d57, v7, 0
	s_mul_i32 s1, s1, s16
	s_mul_i32 s14, s17, s16
	s_delay_alu instid0(VALU_DEP_2) | instskip(SKIP_1) | instid1(VALU_DEP_2)
	v_xor3_b32 v4, v31, v4, v8
	s_mul_i32 s15, s15, s16
	v_xor3_b32 v2, v32, v6, v2
	s_delay_alu instid0(VALU_DEP_2) | instskip(NEXT) | instid1(VALU_DEP_2)
	v_mad_u64_u32 v[6:7], null, 0xcd9e8d57, v4, 0
	v_mad_u64_u32 v[8:9], null, 0xd2511f53, v2, 0
	s_delay_alu instid0(VALU_DEP_2) | instskip(NEXT) | instid1(VALU_DEP_2)
	v_xor3_b32 v4, v33, v7, v5
	v_xor3_b32 v7, v34, v9, v3
	s_delay_alu instid0(VALU_DEP_2) | instskip(NEXT) | instid1(VALU_DEP_2)
	v_mad_u64_u32 v[2:3], null, 0xd2511f53, v4, 0
	v_mad_u64_u32 v[4:5], null, 0xcd9e8d57, v7, 0
	s_delay_alu instid0(VALU_DEP_2) | instskip(NEXT) | instid1(VALU_DEP_2)
	v_xor3_b32 v3, v35, v3, v8
	;; [unrolled: 6-line block ×3, first 2 shown]
	v_xor3_b32 v4, v38, v8, v2
	s_delay_alu instid0(VALU_DEP_2) | instskip(SKIP_1) | instid1(VALU_DEP_3)
	v_mad_u64_u32 v[8:9], null, 0xd2511f53, v3, 0
	v_add_nc_u32_e32 v41, 0x96a522ad, v13
	v_mad_u64_u32 v[2:3], null, 0xcd9e8d57, v4, 0
	s_delay_alu instid0(VALU_DEP_3) | instskip(NEXT) | instid1(VALU_DEP_2)
	v_mov_b32_e32 v4, v8
	v_xor3_b32 v1, v3, v5, v40
	s_delay_alu instid0(VALU_DEP_4)
	v_xor3_b32 v3, v9, v7, v41
	s_branch .LBB1_6
.LBB1_4:                                ;   in Loop: Header=BB1_6 Depth=1
	s_or_b32 exec_lo, exec_lo, s17
	v_add_co_u32 v3, vcc_lo, s4, v1
	v_add_co_ci_u32_e32 v4, vcc_lo, s5, v2, vcc_lo
	v_add_co_u32 v1, vcc_lo, s8, v1
	v_add_co_ci_u32_e32 v2, vcc_lo, s9, v2, vcc_lo
	global_store_b64 v[3:4], v[8:9], off
	global_store_b64 v[1:2], v[10:11], off
.LBB1_5:                                ;   in Loop: Header=BB1_6 Depth=1
	s_or_b32 exec_lo, exec_lo, s16
	v_mov_b32_e32 v8, v16
	v_add_nc_u32_e32 v0, s2, v0
	s_waitcnt_vscnt null, 0x0
	s_barrier
	buffer_gl0_inv
	v_add_nc_u32_e32 v1, s12, v0
	s_delay_alu instid0(VALU_DEP_1) | instskip(SKIP_3) | instid1(SALU_CYCLE_1)
	v_cmp_le_i32_e32 vcc_lo, s13, v1
	v_dual_mov_b32 v1, v5 :: v_dual_mov_b32 v2, v6
	v_dual_mov_b32 v3, v7 :: v_dual_mov_b32 v4, v8
	s_or_b32 s0, vcc_lo, s0
	s_and_not1_b32 exec_lo, exec_lo, s0
	s_cbranch_execz .LBB1_31
.LBB1_6:                                ; =>This Inner Loop Header: Depth=1
	v_add_co_u32 v20, vcc_lo, v20, 1
	s_delay_alu instid0(VALU_DEP_1) | instskip(SKIP_2) | instid1(VALU_DEP_1)
	v_cndmask_b32_e64 v5, 0, 1, vcc_lo
	v_add_co_ci_u32_e32 v21, vcc_lo, 0, v21, vcc_lo
	s_mov_b32 s16, exec_lo
	v_cmp_eq_u32_e32 vcc_lo, 0, v21
	s_delay_alu instid0(VALU_DEP_3) | instskip(NEXT) | instid1(VALU_DEP_1)
	v_cndmask_b32_e32 v5, 0, v5, vcc_lo
	v_add_nc_u32_e32 v19, v5, v19
	s_delay_alu instid0(VALU_DEP_1) | instskip(SKIP_2) | instid1(VALU_DEP_2)
	v_cmp_eq_u32_e32 vcc_lo, 0, v19
	v_mad_u64_u32 v[7:8], null, 0xcd9e8d57, v19, 0
	v_cndmask_b32_e32 v5, 0, v5, vcc_lo
	v_xor3_b32 v10, v8, v12, v21
	s_delay_alu instid0(VALU_DEP_2) | instskip(SKIP_1) | instid1(VALU_DEP_3)
	v_add_nc_u32_e32 v22, v5, v22
	v_mad_u64_u32 v[5:6], null, 0xd2511f53, v20, 0
	v_mad_u64_u32 v[8:9], null, 0xd2511f53, v10, 0
	s_delay_alu instid0(VALU_DEP_2) | instskip(NEXT) | instid1(VALU_DEP_2)
	v_xor_b32_e32 v6, v6, v13
	v_xor3_b32 v9, v23, v9, v5
	s_delay_alu instid0(VALU_DEP_2) | instskip(NEXT) | instid1(VALU_DEP_1)
	v_xor_b32_e32 v6, v22, v6
	v_mad_u64_u32 v[10:11], null, 0xcd9e8d57, v6, 0
	s_delay_alu instid0(VALU_DEP_3) | instskip(NEXT) | instid1(VALU_DEP_2)
	v_mad_u64_u32 v[5:6], null, 0xcd9e8d57, v9, 0
	v_xor3_b32 v7, v24, v11, v7
	s_delay_alu instid0(VALU_DEP_2) | instskip(NEXT) | instid1(VALU_DEP_2)
	v_xor3_b32 v9, v25, v6, v10
	v_mad_u64_u32 v[16:17], null, 0xd2511f53, v7, 0
	s_delay_alu instid0(VALU_DEP_2) | instskip(NEXT) | instid1(VALU_DEP_2)
	v_mad_u64_u32 v[6:7], null, 0xd2511f53, v9, 0
	v_xor3_b32 v10, v26, v17, v8
	s_delay_alu instid0(VALU_DEP_2) | instskip(NEXT) | instid1(VALU_DEP_2)
	v_xor3_b32 v7, v27, v7, v16
	v_mad_u64_u32 v[8:9], null, 0xcd9e8d57, v10, 0
	s_delay_alu instid0(VALU_DEP_1) | instskip(NEXT) | instid1(VALU_DEP_3)
	v_xor3_b32 v5, v28, v9, v5
	v_mad_u64_u32 v[9:10], null, 0xcd9e8d57, v7, 0
	s_delay_alu instid0(VALU_DEP_2) | instskip(NEXT) | instid1(VALU_DEP_2)
	v_mad_u64_u32 v[16:17], null, 0xd2511f53, v5, 0
	v_xor3_b32 v7, v29, v10, v8
	s_delay_alu instid0(VALU_DEP_2) | instskip(NEXT) | instid1(VALU_DEP_2)
	v_xor3_b32 v10, v30, v17, v6
	v_mad_u64_u32 v[5:6], null, 0xd2511f53, v7, 0
	s_delay_alu instid0(VALU_DEP_2) | instskip(NEXT) | instid1(VALU_DEP_2)
	v_mad_u64_u32 v[7:8], null, 0xcd9e8d57, v10, 0
	v_xor3_b32 v6, v31, v6, v16
	s_delay_alu instid0(VALU_DEP_2) | instskip(NEXT) | instid1(VALU_DEP_2)
	;; [unrolled: 6-line block ×6, first 2 shown]
	v_xor3_b32 v5, v7, v8, v40
	v_mov_b32_e32 v7, v11
	v_cmpx_lt_i32_e32 1, v39
	s_xor_b32 s16, exec_lo, s16
	s_cbranch_execz .LBB1_12
; %bb.7:                                ;   in Loop: Header=BB1_6 Depth=1
	s_mov_b32 s17, exec_lo
	v_cmpx_lt_i32_e32 2, v39
	s_xor_b32 s17, exec_lo, s17
; %bb.8:                                ;   in Loop: Header=BB1_6 Depth=1
	v_dual_mov_b32 v8, v4 :: v_dual_mov_b32 v9, v5
	v_mov_b32_e32 v10, v6
	s_delay_alu instid0(VALU_DEP_2) | instskip(NEXT) | instid1(VALU_DEP_2)
	v_dual_mov_b32 v1, v8 :: v_dual_mov_b32 v2, v9
	v_dual_mov_b32 v3, v10 :: v_dual_mov_b32 v4, v11
; %bb.9:                                ;   in Loop: Header=BB1_6 Depth=1
	s_and_not1_saveexec_b32 s17, s17
; %bb.10:                               ;   in Loop: Header=BB1_6 Depth=1
	s_delay_alu instid0(VALU_DEP_1)
	v_dual_mov_b32 v1, v3 :: v_dual_mov_b32 v2, v4
	v_dual_mov_b32 v3, v5 :: v_dual_mov_b32 v4, v6
; %bb.11:                               ;   in Loop: Header=BB1_6 Depth=1
	s_or_b32 exec_lo, exec_lo, s17
.LBB1_12:                               ;   in Loop: Header=BB1_6 Depth=1
	s_and_not1_saveexec_b32 s16, s16
	s_cbranch_execz .LBB1_16
; %bb.13:                               ;   in Loop: Header=BB1_6 Depth=1
	s_mov_b32 s17, exec_lo
	v_cmpx_eq_u32_e32 1, v39
; %bb.14:                               ;   in Loop: Header=BB1_6 Depth=1
	v_dual_mov_b32 v1, v2 :: v_dual_mov_b32 v2, v3
	v_dual_mov_b32 v3, v4 :: v_dual_mov_b32 v4, v5
; %bb.15:                               ;   in Loop: Header=BB1_6 Depth=1
	s_or_b32 exec_lo, exec_lo, s17
.LBB1_16:                               ;   in Loop: Header=BB1_6 Depth=1
	s_delay_alu instid0(SALU_CYCLE_1) | instskip(SKIP_2) | instid1(VALU_DEP_1)
	s_or_b32 exec_lo, exec_lo, s16
	v_add_nc_u32_e32 v8, s12, v0
	s_mov_b32 s16, exec_lo
	v_cmpx_gt_i32_e64 s3, v8
	s_cbranch_execz .LBB1_20
; %bb.17:                               ;   in Loop: Header=BB1_6 Depth=1
	v_ashrrev_i32_e32 v9, 31, v8
	v_mov_b32_e32 v17, 0
	v_mov_b32_e32 v18, 0x3ff00000
	s_mov_b32 s17, exec_lo
	s_delay_alu instid0(VALU_DEP_3) | instskip(NEXT) | instid1(VALU_DEP_1)
	v_lshlrev_b64 v[8:9], 3, v[8:9]
	v_add_co_u32 v10, vcc_lo, s6, v8
	s_delay_alu instid0(VALU_DEP_2)
	v_add_co_ci_u32_e32 v11, vcc_lo, s7, v9, vcc_lo
	global_load_b64 v[10:11], v[10:11], off
	s_waitcnt vmcnt(0)
	v_cmpx_ge_f64_e32 0, v[10:11]
; %bb.18:                               ;   in Loop: Header=BB1_6 Depth=1
	v_cvt_f32_u32_e32 v1, v1
	s_delay_alu instid0(VALU_DEP_1) | instskip(NEXT) | instid1(VALU_DEP_1)
	v_fmaak_f32 v1, 0x2f800000, v1, 0x2f800000
	v_cvt_f64_f32_e32 v[17:18], v1
	s_delay_alu instid0(VALU_DEP_1) | instskip(NEXT) | instid1(VALU_DEP_1)
	v_fma_f64 v[17:18], v[14:15], v[17:18], s[10:11]
	v_mul_f64 v[10:11], v[10:11], v[17:18]
; %bb.19:                               ;   in Loop: Header=BB1_6 Depth=1
	s_or_b32 exec_lo, exec_lo, s17
	v_add_co_u32 v42, vcc_lo, s4, v8
	v_add_co_ci_u32_e32 v43, vcc_lo, s5, v9, vcc_lo
	v_add_co_u32 v8, vcc_lo, s8, v8
	v_add_co_ci_u32_e32 v9, vcc_lo, s9, v9, vcc_lo
	global_store_b64 v[42:43], v[10:11], off
	global_store_b64 v[8:9], v[17:18], off
.LBB1_20:                               ;   in Loop: Header=BB1_6 Depth=1
	s_or_b32 exec_lo, exec_lo, s16
	v_add_nc_u32_e32 v8, s15, v0
	s_mov_b32 s16, exec_lo
	s_delay_alu instid0(VALU_DEP_1)
	v_cmpx_gt_i32_e64 s3, v8
	s_cbranch_execz .LBB1_24
; %bb.21:                               ;   in Loop: Header=BB1_6 Depth=1
	v_ashrrev_i32_e32 v9, 31, v8
	v_mov_b32_e32 v17, 0
	v_mov_b32_e32 v18, 0x3ff00000
	s_mov_b32 s17, exec_lo
	s_delay_alu instid0(VALU_DEP_3) | instskip(NEXT) | instid1(VALU_DEP_1)
	v_lshlrev_b64 v[8:9], 3, v[8:9]
	v_add_co_u32 v10, vcc_lo, s6, v8
	s_delay_alu instid0(VALU_DEP_2)
	v_add_co_ci_u32_e32 v11, vcc_lo, s7, v9, vcc_lo
	global_load_b64 v[10:11], v[10:11], off
	s_waitcnt vmcnt(0)
	v_cmpx_ge_f64_e32 0, v[10:11]
; %bb.22:                               ;   in Loop: Header=BB1_6 Depth=1
	v_cvt_f32_u32_e32 v1, v2
	s_delay_alu instid0(VALU_DEP_1) | instskip(NEXT) | instid1(VALU_DEP_1)
	v_fmaak_f32 v1, 0x2f800000, v1, 0x2f800000
	v_cvt_f64_f32_e32 v[1:2], v1
	s_delay_alu instid0(VALU_DEP_1) | instskip(NEXT) | instid1(VALU_DEP_1)
	v_fma_f64 v[17:18], v[14:15], v[1:2], s[10:11]
	v_mul_f64 v[10:11], v[10:11], v[17:18]
; %bb.23:                               ;   in Loop: Header=BB1_6 Depth=1
	s_or_b32 exec_lo, exec_lo, s17
	v_add_co_u32 v1, vcc_lo, s4, v8
	v_add_co_ci_u32_e32 v2, vcc_lo, s5, v9, vcc_lo
	v_add_co_u32 v8, vcc_lo, s8, v8
	v_add_co_ci_u32_e32 v9, vcc_lo, s9, v9, vcc_lo
	global_store_b64 v[1:2], v[10:11], off
	global_store_b64 v[8:9], v[17:18], off
.LBB1_24:                               ;   in Loop: Header=BB1_6 Depth=1
	s_or_b32 exec_lo, exec_lo, s16
	v_add_nc_u32_e32 v1, s1, v0
	s_mov_b32 s16, exec_lo
	s_delay_alu instid0(VALU_DEP_1)
	;; [unrolled: 36-line block ×3, first 2 shown]
	v_cmpx_gt_i32_e64 s3, v1
	s_cbranch_execz .LBB1_5
; %bb.29:                               ;   in Loop: Header=BB1_6 Depth=1
	v_ashrrev_i32_e32 v2, 31, v1
	v_mov_b32_e32 v10, 0
	v_mov_b32_e32 v11, 0x3ff00000
	s_mov_b32 s17, exec_lo
	s_delay_alu instid0(VALU_DEP_3) | instskip(NEXT) | instid1(VALU_DEP_1)
	v_lshlrev_b64 v[1:2], 3, v[1:2]
	v_add_co_u32 v8, vcc_lo, s6, v1
	s_delay_alu instid0(VALU_DEP_2)
	v_add_co_ci_u32_e32 v9, vcc_lo, s7, v2, vcc_lo
	global_load_b64 v[8:9], v[8:9], off
	s_waitcnt vmcnt(0)
	v_cmpx_ge_f64_e32 0, v[8:9]
	s_cbranch_execz .LBB1_4
; %bb.30:                               ;   in Loop: Header=BB1_6 Depth=1
	v_cvt_f32_u32_e32 v3, v4
	s_delay_alu instid0(VALU_DEP_1) | instskip(NEXT) | instid1(VALU_DEP_1)
	v_fmaak_f32 v3, 0x2f800000, v3, 0x2f800000
	v_cvt_f64_f32_e32 v[3:4], v3
	s_delay_alu instid0(VALU_DEP_1) | instskip(NEXT) | instid1(VALU_DEP_1)
	v_fma_f64 v[10:11], v[14:15], v[3:4], s[10:11]
	v_mul_f64 v[8:9], v[8:9], v[10:11]
	s_branch .LBB1_4
.LBB1_31:
	s_endpgm
	.section	.rodata,"a",@progbits
	.p2align	6, 0x0
	.amdhsa_kernel _ZN2at6native28rrelu_with_noise_cuda_kernelIdLi4EZNS0_28_rrelu_with_noise_cuda_trainIdEEvRNS_6TensorERKS3_S4_RKN3c106ScalarESA_St8optionalINS_9GeneratorEEEUlP25hiprandStatePhilox4_32_10E0_EEviNS_15PhiloxCudaStateEPT_PKSI_SJ_ddRKT1_
		.amdhsa_group_segment_fixed_size 0
		.amdhsa_private_segment_fixed_size 0
		.amdhsa_kernarg_size 344
		.amdhsa_user_sgpr_count 15
		.amdhsa_user_sgpr_dispatch_ptr 0
		.amdhsa_user_sgpr_queue_ptr 0
		.amdhsa_user_sgpr_kernarg_segment_ptr 1
		.amdhsa_user_sgpr_dispatch_id 0
		.amdhsa_user_sgpr_private_segment_size 0
		.amdhsa_wavefront_size32 1
		.amdhsa_uses_dynamic_stack 0
		.amdhsa_enable_private_segment 0
		.amdhsa_system_sgpr_workgroup_id_x 1
		.amdhsa_system_sgpr_workgroup_id_y 0
		.amdhsa_system_sgpr_workgroup_id_z 0
		.amdhsa_system_sgpr_workgroup_info 0
		.amdhsa_system_vgpr_workitem_id 0
		.amdhsa_next_free_vgpr 44
		.amdhsa_next_free_sgpr 18
		.amdhsa_reserve_vcc 1
		.amdhsa_float_round_mode_32 0
		.amdhsa_float_round_mode_16_64 0
		.amdhsa_float_denorm_mode_32 3
		.amdhsa_float_denorm_mode_16_64 3
		.amdhsa_dx10_clamp 1
		.amdhsa_ieee_mode 1
		.amdhsa_fp16_overflow 0
		.amdhsa_workgroup_processor_mode 1
		.amdhsa_memory_ordered 1
		.amdhsa_forward_progress 0
		.amdhsa_shared_vgpr_count 0
		.amdhsa_exception_fp_ieee_invalid_op 0
		.amdhsa_exception_fp_denorm_src 0
		.amdhsa_exception_fp_ieee_div_zero 0
		.amdhsa_exception_fp_ieee_overflow 0
		.amdhsa_exception_fp_ieee_underflow 0
		.amdhsa_exception_fp_ieee_inexact 0
		.amdhsa_exception_int_div_zero 0
	.end_amdhsa_kernel
	.section	.text._ZN2at6native28rrelu_with_noise_cuda_kernelIdLi4EZNS0_28_rrelu_with_noise_cuda_trainIdEEvRNS_6TensorERKS3_S4_RKN3c106ScalarESA_St8optionalINS_9GeneratorEEEUlP25hiprandStatePhilox4_32_10E0_EEviNS_15PhiloxCudaStateEPT_PKSI_SJ_ddRKT1_,"axG",@progbits,_ZN2at6native28rrelu_with_noise_cuda_kernelIdLi4EZNS0_28_rrelu_with_noise_cuda_trainIdEEvRNS_6TensorERKS3_S4_RKN3c106ScalarESA_St8optionalINS_9GeneratorEEEUlP25hiprandStatePhilox4_32_10E0_EEviNS_15PhiloxCudaStateEPT_PKSI_SJ_ddRKT1_,comdat
.Lfunc_end1:
	.size	_ZN2at6native28rrelu_with_noise_cuda_kernelIdLi4EZNS0_28_rrelu_with_noise_cuda_trainIdEEvRNS_6TensorERKS3_S4_RKN3c106ScalarESA_St8optionalINS_9GeneratorEEEUlP25hiprandStatePhilox4_32_10E0_EEviNS_15PhiloxCudaStateEPT_PKSI_SJ_ddRKT1_, .Lfunc_end1-_ZN2at6native28rrelu_with_noise_cuda_kernelIdLi4EZNS0_28_rrelu_with_noise_cuda_trainIdEEvRNS_6TensorERKS3_S4_RKN3c106ScalarESA_St8optionalINS_9GeneratorEEEUlP25hiprandStatePhilox4_32_10E0_EEviNS_15PhiloxCudaStateEPT_PKSI_SJ_ddRKT1_
                                        ; -- End function
	.section	.AMDGPU.csdata,"",@progbits
; Kernel info:
; codeLenInByte = 2556
; NumSgprs: 20
; NumVgprs: 44
; ScratchSize: 0
; MemoryBound: 0
; FloatMode: 240
; IeeeMode: 1
; LDSByteSize: 0 bytes/workgroup (compile time only)
; SGPRBlocks: 2
; VGPRBlocks: 5
; NumSGPRsForWavesPerEU: 20
; NumVGPRsForWavesPerEU: 44
; Occupancy: 16
; WaveLimiterHint : 0
; COMPUTE_PGM_RSRC2:SCRATCH_EN: 0
; COMPUTE_PGM_RSRC2:USER_SGPR: 15
; COMPUTE_PGM_RSRC2:TRAP_HANDLER: 0
; COMPUTE_PGM_RSRC2:TGID_X_EN: 1
; COMPUTE_PGM_RSRC2:TGID_Y_EN: 0
; COMPUTE_PGM_RSRC2:TGID_Z_EN: 0
; COMPUTE_PGM_RSRC2:TIDIG_COMP_CNT: 0
	.section	.text._ZN2at6native28rrelu_with_noise_cuda_kernelIfLi2EZNS0_28_rrelu_with_noise_cuda_trainIfEEvRNS_6TensorERKS3_S4_RKN3c106ScalarESA_St8optionalINS_9GeneratorEEEUlP25hiprandStatePhilox4_32_10E_EEviNS_15PhiloxCudaStateEPT_PKSI_SJ_ddRKT1_,"axG",@progbits,_ZN2at6native28rrelu_with_noise_cuda_kernelIfLi2EZNS0_28_rrelu_with_noise_cuda_trainIfEEvRNS_6TensorERKS3_S4_RKN3c106ScalarESA_St8optionalINS_9GeneratorEEEUlP25hiprandStatePhilox4_32_10E_EEviNS_15PhiloxCudaStateEPT_PKSI_SJ_ddRKT1_,comdat
	.protected	_ZN2at6native28rrelu_with_noise_cuda_kernelIfLi2EZNS0_28_rrelu_with_noise_cuda_trainIfEEvRNS_6TensorERKS3_S4_RKN3c106ScalarESA_St8optionalINS_9GeneratorEEEUlP25hiprandStatePhilox4_32_10E_EEviNS_15PhiloxCudaStateEPT_PKSI_SJ_ddRKT1_ ; -- Begin function _ZN2at6native28rrelu_with_noise_cuda_kernelIfLi2EZNS0_28_rrelu_with_noise_cuda_trainIfEEvRNS_6TensorERKS3_S4_RKN3c106ScalarESA_St8optionalINS_9GeneratorEEEUlP25hiprandStatePhilox4_32_10E_EEviNS_15PhiloxCudaStateEPT_PKSI_SJ_ddRKT1_
	.globl	_ZN2at6native28rrelu_with_noise_cuda_kernelIfLi2EZNS0_28_rrelu_with_noise_cuda_trainIfEEvRNS_6TensorERKS3_S4_RKN3c106ScalarESA_St8optionalINS_9GeneratorEEEUlP25hiprandStatePhilox4_32_10E_EEviNS_15PhiloxCudaStateEPT_PKSI_SJ_ddRKT1_
	.p2align	8
	.type	_ZN2at6native28rrelu_with_noise_cuda_kernelIfLi2EZNS0_28_rrelu_with_noise_cuda_trainIfEEvRNS_6TensorERKS3_S4_RKN3c106ScalarESA_St8optionalINS_9GeneratorEEEUlP25hiprandStatePhilox4_32_10E_EEviNS_15PhiloxCudaStateEPT_PKSI_SJ_ddRKT1_,@function
_ZN2at6native28rrelu_with_noise_cuda_kernelIfLi2EZNS0_28_rrelu_with_noise_cuda_trainIfEEvRNS_6TensorERKS3_S4_RKN3c106ScalarESA_St8optionalINS_9GeneratorEEEUlP25hiprandStatePhilox4_32_10E_EEviNS_15PhiloxCudaStateEPT_PKSI_SJ_ddRKT1_: ; @_ZN2at6native28rrelu_with_noise_cuda_kernelIfLi2EZNS0_28_rrelu_with_noise_cuda_trainIfEEvRNS_6TensorERKS3_S4_RKN3c106ScalarESA_St8optionalINS_9GeneratorEEEUlP25hiprandStatePhilox4_32_10E_EEviNS_15PhiloxCudaStateEPT_PKSI_SJ_ddRKT1_
; %bb.0:
	s_clause 0x1
	s_load_b128 s[4:7], s[0:1], 0x8
	s_load_b32 s2, s[0:1], 0x20
	s_waitcnt lgkmcnt(0)
	v_dual_mov_b32 v1, s6 :: v_dual_mov_b32 v2, s7
	v_dual_mov_b32 v13, s5 :: v_dual_mov_b32 v12, s4
	s_bitcmp0_b32 s2, 0
	s_cbranch_scc1 .LBB2_2
; %bb.1:
	v_dual_mov_b32 v1, s6 :: v_dual_mov_b32 v2, s7
	v_dual_mov_b32 v3, s4 :: v_dual_mov_b32 v4, s5
	s_load_b64 s[2:3], s[0:1], 0x18
	flat_load_b64 v[1:2], v[1:2]
	flat_load_b64 v[12:13], v[3:4]
	s_waitcnt vmcnt(1) lgkmcnt(0)
	v_add_co_u32 v1, vcc_lo, v1, s2
	v_add_co_ci_u32_e32 v2, vcc_lo, s3, v2, vcc_lo
.LBB2_2:
	s_clause 0x2
	s_load_b32 s2, s[0:1], 0x64
	s_load_b32 s16, s[0:1], 0x58
	;; [unrolled: 1-line block ×3, first 2 shown]
	s_waitcnt lgkmcnt(0)
	s_and_b32 s14, s2, 0xffff
	s_add_i32 s7, s3, -1
	s_mul_i32 s2, s16, s14
	s_mul_i32 s12, s15, s14
	s_lshl_b32 s2, s2, 1
	s_abs_i32 s8, s7
	s_abs_i32 s4, s2
	v_add_nc_u32_e32 v18, s12, v0
	v_cvt_f32_u32_e32 v3, s4
	s_sub_i32 s6, 0, s4
	s_delay_alu instid0(VALU_DEP_1) | instskip(SKIP_2) | instid1(VALU_DEP_1)
	v_rcp_iflag_f32_e32 v3, v3
	s_waitcnt_depctr 0xfff
	v_mul_f32_e32 v3, 0x4f7ffffe, v3
	v_cvt_u32_f32_e32 v3, v3
	s_delay_alu instid0(VALU_DEP_1) | instskip(NEXT) | instid1(VALU_DEP_1)
	v_readfirstlane_b32 s5, v3
	s_mul_i32 s6, s6, s5
	s_delay_alu instid0(SALU_CYCLE_1) | instskip(NEXT) | instid1(SALU_CYCLE_1)
	s_mul_hi_u32 s6, s5, s6
	s_add_i32 s5, s5, s6
	s_xor_b32 s6, s7, s2
	s_mul_hi_u32 s5, s8, s5
	s_ashr_i32 s6, s6, 31
	s_mul_i32 s7, s5, s4
	s_delay_alu instid0(SALU_CYCLE_1)
	s_sub_i32 s7, s8, s7
	s_add_i32 s8, s5, 1
	s_sub_i32 s9, s7, s4
	s_cmp_ge_u32 s7, s4
	s_cselect_b32 s5, s8, s5
	s_cselect_b32 s7, s9, s7
	s_add_i32 s8, s5, 1
	s_cmp_ge_u32 s7, s4
	s_cselect_b32 s4, s8, s5
	s_delay_alu instid0(SALU_CYCLE_1) | instskip(NEXT) | instid1(SALU_CYCLE_1)
	s_xor_b32 s4, s4, s6
	s_sub_i32 s4, s4, s6
	s_delay_alu instid0(SALU_CYCLE_1) | instskip(NEXT) | instid1(SALU_CYCLE_1)
	s_add_i32 s4, s4, 1
	s_mul_i32 s13, s2, s4
	s_mov_b32 s4, exec_lo
	v_cmpx_gt_i32_e64 s13, v18
	s_cbranch_execz .LBB2_23
; %bb.3:
	v_alignbit_b32 v19, v2, v1, 2
	v_mad_u64_u32 v[5:6], null, 0xcd9e8d57, v18, 0
	v_lshrrev_b32_e32 v20, 2, v2
	v_ashrrev_i32_e32 v21, 31, v18
	s_delay_alu instid0(VALU_DEP_4) | instskip(SKIP_4) | instid1(VALU_DEP_4)
	v_mad_u64_u32 v[3:4], null, 0xd2511f53, v19, 0
	s_waitcnt vmcnt(0)
	v_dual_mov_b32 v10, v13 :: v_dual_add_nc_u32 v39, 0x96a522ad, v13
	v_add_co_u32 v23, null, 0x9e3779b9, v12
	v_add_co_u32 v24, null, 0x3c6ef372, v12
	v_xor_b32_e32 v2, v4, v13
	v_xor3_b32 v4, v12, v6, v20
	v_add_co_u32 v22, null, 0xbb67ae85, v10
	v_add_co_u32 v25, null, 0x76cf5d0a, v10
	s_delay_alu instid0(VALU_DEP_4) | instskip(NEXT) | instid1(VALU_DEP_4)
	v_xor_b32_e32 v2, v2, v21
	v_mad_u64_u32 v[6:7], null, 0xd2511f53, v4, 0
	v_add_co_u32 v26, null, 0x32370b8f, v10
	s_delay_alu instid0(VALU_DEP_3) | instskip(SKIP_1) | instid1(VALU_DEP_4)
	v_mad_u64_u32 v[8:9], null, 0xcd9e8d57, v2, 0
	v_add_co_u32 v27, null, 0xdaa66d2b, v12
	v_xor3_b32 v4, v22, v7, v3
	v_add_co_u32 v28, null, 0x78dde6e4, v12
	v_add_co_u32 v29, null, 0xed9eba14, v10
	v_xor3_b32 v7, v23, v9, v5
	s_delay_alu instid0(VALU_DEP_4) | instskip(SKIP_1) | instid1(VALU_DEP_3)
	v_mad_u64_u32 v[2:3], null, 0xcd9e8d57, v4, 0
	v_add_co_u32 v30, null, 0xa9066899, v10
	v_mad_u64_u32 v[4:5], null, 0xd2511f53, v7, 0
	v_add_co_u32 v31, null, 0x1715609d, v12
	s_delay_alu instid0(VALU_DEP_4) | instskip(SKIP_4) | instid1(VALU_DEP_4)
	v_xor3_b32 v3, v24, v3, v8
	s_clause 0x1
	s_load_b256 s[4:11], s[0:1], 0x28
	s_load_b64 s[0:1], s[0:1], 0x48
	v_add_co_u32 v32, null, 0x646e171e, v10
	v_xor3_b32 v9, v25, v5, v6
	v_mad_u64_u32 v[5:6], null, 0xd2511f53, v3, 0
	v_add_co_u32 v33, null, 0xb54cda56, v12
	s_delay_alu instid0(VALU_DEP_3) | instskip(SKIP_1) | instid1(VALU_DEP_4)
	v_mad_u64_u32 v[7:8], null, 0xcd9e8d57, v9, 0
	v_add_co_u32 v34, null, 0x5384540f, v12
	v_xor3_b32 v4, v26, v6, v4
	v_add_co_u32 v35, null, 0x1fd5c5a3, v10
	v_add_co_u32 v36, null, 0xdb3d7428, v10
	v_xor3_b32 v6, v27, v8, v2
	s_delay_alu instid0(VALU_DEP_4)
	v_mad_u64_u32 v[2:3], null, 0xcd9e8d57, v4, 0
	s_waitcnt lgkmcnt(0)
	v_add_f64 v[14:15], s[0:1], -s[10:11]
	v_add_co_u32 v37, null, 0xf1bbcdc8, v12
	v_mad_u64_u32 v[8:9], null, 0xd2511f53, v6, 0
	v_add_nc_u32_e32 v38, 0x8ff34781, v12
	v_xor3_b32 v6, v28, v3, v7
	v_and_b32_e32 v40, 3, v1
	s_add_i32 s1, s15, s16
	s_mov_b32 s0, 0
	s_mul_i32 s1, s1, s14
	s_delay_alu instid0(VALU_DEP_4) | instskip(SKIP_1) | instid1(VALU_DEP_2)
	v_xor3_b32 v7, v29, v9, v5
	v_mad_u64_u32 v[3:4], null, 0xd2511f53, v6, 0
	v_mad_u64_u32 v[5:6], null, 0xcd9e8d57, v7, 0
	s_delay_alu instid0(VALU_DEP_2) | instskip(NEXT) | instid1(VALU_DEP_2)
	v_xor3_b32 v4, v30, v4, v8
	v_xor3_b32 v2, v31, v6, v2
	s_delay_alu instid0(VALU_DEP_2) | instskip(NEXT) | instid1(VALU_DEP_2)
	v_mad_u64_u32 v[6:7], null, 0xcd9e8d57, v4, 0
	v_mad_u64_u32 v[8:9], null, 0xd2511f53, v2, 0
	s_delay_alu instid0(VALU_DEP_2) | instskip(NEXT) | instid1(VALU_DEP_2)
	v_xor3_b32 v7, v33, v7, v5
	v_xor3_b32 v4, v32, v9, v3
	s_delay_alu instid0(VALU_DEP_1) | instskip(NEXT) | instid1(VALU_DEP_3)
	v_mad_u64_u32 v[2:3], null, 0xcd9e8d57, v4, 0
	v_mad_u64_u32 v[4:5], null, 0xd2511f53, v7, 0
	s_delay_alu instid0(VALU_DEP_2) | instskip(NEXT) | instid1(VALU_DEP_2)
	v_xor3_b32 v3, v34, v3, v6
	v_xor3_b32 v9, v35, v5, v8
	s_delay_alu instid0(VALU_DEP_2) | instskip(NEXT) | instid1(VALU_DEP_2)
	v_mad_u64_u32 v[5:6], null, 0xd2511f53, v3, 0
	v_mad_u64_u32 v[7:8], null, 0xcd9e8d57, v9, 0
	s_delay_alu instid0(VALU_DEP_2) | instskip(NEXT) | instid1(VALU_DEP_2)
	v_xor3_b32 v4, v36, v6, v4
	v_xor3_b32 v6, v37, v8, v2
	s_delay_alu instid0(VALU_DEP_2) | instskip(NEXT) | instid1(VALU_DEP_2)
	v_mad_u64_u32 v[2:3], null, 0xcd9e8d57, v4, 0
	v_mad_u64_u32 v[8:9], null, 0xd2511f53, v6, 0
	s_delay_alu instid0(VALU_DEP_2) | instskip(NEXT) | instid1(VALU_DEP_2)
	v_xor3_b32 v1, v3, v7, v38
	v_xor3_b32 v3, v9, v5, v39
	s_delay_alu instid0(VALU_DEP_3)
	v_mov_b32_e32 v4, v8
	s_branch .LBB2_6
.LBB2_4:                                ;   in Loop: Header=BB2_6 Depth=1
	s_or_b32 exec_lo, exec_lo, s15
	v_add_co_u32 v3, vcc_lo, s4, v1
	v_add_co_ci_u32_e32 v4, vcc_lo, s5, v2, vcc_lo
	v_add_co_u32 v1, vcc_lo, s8, v1
	v_add_co_ci_u32_e32 v2, vcc_lo, s9, v2, vcc_lo
	global_store_b32 v[3:4], v8, off
	global_store_b32 v[1:2], v9, off
.LBB2_5:                                ;   in Loop: Header=BB2_6 Depth=1
	s_or_b32 exec_lo, exec_lo, s14
	v_mov_b32_e32 v8, v16
	v_add_nc_u32_e32 v0, s2, v0
	s_waitcnt_vscnt null, 0x0
	s_barrier
	buffer_gl0_inv
	v_add_nc_u32_e32 v1, s12, v0
	s_delay_alu instid0(VALU_DEP_1) | instskip(SKIP_3) | instid1(SALU_CYCLE_1)
	v_cmp_le_i32_e32 vcc_lo, s13, v1
	v_dual_mov_b32 v1, v5 :: v_dual_mov_b32 v2, v6
	v_dual_mov_b32 v3, v7 :: v_dual_mov_b32 v4, v8
	s_or_b32 s0, vcc_lo, s0
	s_and_not1_b32 exec_lo, exec_lo, s0
	s_cbranch_execz .LBB2_23
.LBB2_6:                                ; =>This Inner Loop Header: Depth=1
	v_add_co_u32 v19, vcc_lo, v19, 1
	s_delay_alu instid0(VALU_DEP_1) | instskip(SKIP_2) | instid1(VALU_DEP_1)
	v_cndmask_b32_e64 v5, 0, 1, vcc_lo
	v_add_co_ci_u32_e32 v20, vcc_lo, 0, v20, vcc_lo
	s_mov_b32 s14, exec_lo
	v_cmp_eq_u32_e32 vcc_lo, 0, v20
	s_delay_alu instid0(VALU_DEP_3) | instskip(NEXT) | instid1(VALU_DEP_1)
	v_cndmask_b32_e32 v5, 0, v5, vcc_lo
	v_add_nc_u32_e32 v18, v5, v18
	s_delay_alu instid0(VALU_DEP_1) | instskip(SKIP_2) | instid1(VALU_DEP_2)
	v_cmp_eq_u32_e32 vcc_lo, 0, v18
	v_cndmask_b32_e32 v5, 0, v5, vcc_lo
	v_mad_u64_u32 v[7:8], null, 0xcd9e8d57, v18, 0
	v_add_nc_u32_e32 v21, v5, v21
	v_mad_u64_u32 v[5:6], null, 0xd2511f53, v19, 0
	s_delay_alu instid0(VALU_DEP_3) | instskip(NEXT) | instid1(VALU_DEP_2)
	v_xor3_b32 v10, v8, v12, v20
	v_xor_b32_e32 v6, v6, v13
	s_delay_alu instid0(VALU_DEP_2) | instskip(NEXT) | instid1(VALU_DEP_2)
	v_mad_u64_u32 v[8:9], null, 0xd2511f53, v10, 0
	v_xor_b32_e32 v6, v21, v6
	s_delay_alu instid0(VALU_DEP_2) | instskip(NEXT) | instid1(VALU_DEP_2)
	v_xor3_b32 v9, v22, v9, v5
	v_mad_u64_u32 v[10:11], null, 0xcd9e8d57, v6, 0
	s_delay_alu instid0(VALU_DEP_2) | instskip(NEXT) | instid1(VALU_DEP_2)
	v_mad_u64_u32 v[5:6], null, 0xcd9e8d57, v9, 0
	v_xor3_b32 v7, v23, v11, v7
	s_delay_alu instid0(VALU_DEP_2) | instskip(NEXT) | instid1(VALU_DEP_2)
	v_xor3_b32 v9, v24, v6, v10
	v_mad_u64_u32 v[16:17], null, 0xd2511f53, v7, 0
	s_delay_alu instid0(VALU_DEP_2) | instskip(NEXT) | instid1(VALU_DEP_2)
	v_mad_u64_u32 v[6:7], null, 0xd2511f53, v9, 0
	v_xor3_b32 v10, v25, v17, v8
	s_delay_alu instid0(VALU_DEP_2) | instskip(NEXT) | instid1(VALU_DEP_2)
	v_xor3_b32 v7, v26, v7, v16
	v_mad_u64_u32 v[8:9], null, 0xcd9e8d57, v10, 0
	s_delay_alu instid0(VALU_DEP_1) | instskip(NEXT) | instid1(VALU_DEP_3)
	v_xor3_b32 v5, v27, v9, v5
	v_mad_u64_u32 v[9:10], null, 0xcd9e8d57, v7, 0
	s_delay_alu instid0(VALU_DEP_2) | instskip(NEXT) | instid1(VALU_DEP_2)
	v_mad_u64_u32 v[16:17], null, 0xd2511f53, v5, 0
	v_xor3_b32 v7, v28, v10, v8
	s_delay_alu instid0(VALU_DEP_2) | instskip(NEXT) | instid1(VALU_DEP_2)
	v_xor3_b32 v10, v29, v17, v6
	v_mad_u64_u32 v[5:6], null, 0xd2511f53, v7, 0
	s_delay_alu instid0(VALU_DEP_2) | instskip(NEXT) | instid1(VALU_DEP_2)
	v_mad_u64_u32 v[7:8], null, 0xcd9e8d57, v10, 0
	v_xor3_b32 v6, v30, v6, v16
	s_delay_alu instid0(VALU_DEP_2) | instskip(NEXT) | instid1(VALU_DEP_2)
	;; [unrolled: 6-line block ×6, first 2 shown]
	v_xor3_b32 v5, v7, v8, v38
	v_mov_b32_e32 v7, v11
	v_cmpx_lt_i32_e32 1, v40
	s_xor_b32 s14, exec_lo, s14
	s_cbranch_execz .LBB2_12
; %bb.7:                                ;   in Loop: Header=BB2_6 Depth=1
	s_mov_b32 s15, exec_lo
	v_cmpx_lt_i32_e32 2, v40
	s_xor_b32 s15, exec_lo, s15
; %bb.8:                                ;   in Loop: Header=BB2_6 Depth=1
	v_dual_mov_b32 v8, v4 :: v_dual_mov_b32 v9, v5
	v_mov_b32_e32 v10, v6
	s_delay_alu instid0(VALU_DEP_2) | instskip(NEXT) | instid1(VALU_DEP_2)
	v_dual_mov_b32 v1, v8 :: v_dual_mov_b32 v2, v9
	v_dual_mov_b32 v3, v10 :: v_dual_mov_b32 v4, v11
; %bb.9:                                ;   in Loop: Header=BB2_6 Depth=1
	s_and_not1_saveexec_b32 s15, s15
; %bb.10:                               ;   in Loop: Header=BB2_6 Depth=1
	s_delay_alu instid0(VALU_DEP_1)
	v_dual_mov_b32 v1, v3 :: v_dual_mov_b32 v2, v4
	v_dual_mov_b32 v3, v5 :: v_dual_mov_b32 v4, v6
; %bb.11:                               ;   in Loop: Header=BB2_6 Depth=1
	s_or_b32 exec_lo, exec_lo, s15
.LBB2_12:                               ;   in Loop: Header=BB2_6 Depth=1
	s_and_not1_saveexec_b32 s14, s14
	s_cbranch_execz .LBB2_16
; %bb.13:                               ;   in Loop: Header=BB2_6 Depth=1
	s_mov_b32 s15, exec_lo
	v_cmpx_eq_u32_e32 1, v40
; %bb.14:                               ;   in Loop: Header=BB2_6 Depth=1
	v_dual_mov_b32 v1, v2 :: v_dual_mov_b32 v2, v3
	v_dual_mov_b32 v3, v4 :: v_dual_mov_b32 v4, v5
; %bb.15:                               ;   in Loop: Header=BB2_6 Depth=1
	s_or_b32 exec_lo, exec_lo, s15
.LBB2_16:                               ;   in Loop: Header=BB2_6 Depth=1
	s_delay_alu instid0(SALU_CYCLE_1) | instskip(SKIP_2) | instid1(VALU_DEP_1)
	s_or_b32 exec_lo, exec_lo, s14
	v_add_nc_u32_e32 v8, s12, v0
	s_mov_b32 s14, exec_lo
	v_cmpx_gt_i32_e64 s3, v8
	s_cbranch_execz .LBB2_20
; %bb.17:                               ;   in Loop: Header=BB2_6 Depth=1
	v_ashrrev_i32_e32 v9, 31, v8
	s_mov_b32 s15, exec_lo
	s_delay_alu instid0(VALU_DEP_1) | instskip(NEXT) | instid1(VALU_DEP_1)
	v_lshlrev_b64 v[8:9], 2, v[8:9]
	v_add_co_u32 v10, vcc_lo, s6, v8
	s_delay_alu instid0(VALU_DEP_2)
	v_add_co_ci_u32_e32 v11, vcc_lo, s7, v9, vcc_lo
	global_load_b32 v10, v[10:11], off
	v_mov_b32_e32 v11, 1.0
	s_waitcnt vmcnt(0)
	v_cmpx_ge_f32_e32 0, v10
; %bb.18:                               ;   in Loop: Header=BB2_6 Depth=1
	v_lshrrev_b32_e32 v2, 11, v2
	s_delay_alu instid0(VALU_DEP_1) | instskip(SKIP_1) | instid1(VALU_DEP_2)
	v_cvt_f64_u32_e32 v[41:42], v2
	v_cvt_f64_u32_e32 v[1:2], v1
	v_ldexp_f64 v[41:42], v[41:42], 32
	s_delay_alu instid0(VALU_DEP_1) | instskip(NEXT) | instid1(VALU_DEP_1)
	v_add_f64 v[1:2], v[41:42], v[1:2]
	v_fma_f64 v[1:2], 0x3ca00000, v[1:2], 0x3ca00000
	s_delay_alu instid0(VALU_DEP_1) | instskip(NEXT) | instid1(VALU_DEP_1)
	v_cvt_f32_f64_e32 v1, v[1:2]
	v_cvt_f64_f32_e32 v[1:2], v1
	s_delay_alu instid0(VALU_DEP_1) | instskip(NEXT) | instid1(VALU_DEP_1)
	v_fma_f64 v[1:2], v[14:15], v[1:2], s[10:11]
	v_cvt_f32_f64_e32 v11, v[1:2]
	s_delay_alu instid0(VALU_DEP_1)
	v_mul_f32_e32 v10, v10, v11
; %bb.19:                               ;   in Loop: Header=BB2_6 Depth=1
	s_or_b32 exec_lo, exec_lo, s15
	v_add_co_u32 v1, vcc_lo, s4, v8
	v_add_co_ci_u32_e32 v2, vcc_lo, s5, v9, vcc_lo
	v_add_co_u32 v8, vcc_lo, s8, v8
	v_add_co_ci_u32_e32 v9, vcc_lo, s9, v9, vcc_lo
	global_store_b32 v[1:2], v10, off
	global_store_b32 v[8:9], v11, off
.LBB2_20:                               ;   in Loop: Header=BB2_6 Depth=1
	s_or_b32 exec_lo, exec_lo, s14
	v_add_nc_u32_e32 v1, s1, v0
	s_mov_b32 s14, exec_lo
	s_delay_alu instid0(VALU_DEP_1)
	v_cmpx_gt_i32_e64 s3, v1
	s_cbranch_execz .LBB2_5
; %bb.21:                               ;   in Loop: Header=BB2_6 Depth=1
	v_ashrrev_i32_e32 v2, 31, v1
	s_mov_b32 s15, exec_lo
	s_delay_alu instid0(VALU_DEP_1) | instskip(NEXT) | instid1(VALU_DEP_1)
	v_lshlrev_b64 v[1:2], 2, v[1:2]
	v_add_co_u32 v8, vcc_lo, s6, v1
	s_delay_alu instid0(VALU_DEP_2)
	v_add_co_ci_u32_e32 v9, vcc_lo, s7, v2, vcc_lo
	global_load_b32 v8, v[8:9], off
	v_mov_b32_e32 v9, 1.0
	s_waitcnt vmcnt(0)
	v_cmpx_ge_f32_e32 0, v8
	s_cbranch_execz .LBB2_4
; %bb.22:                               ;   in Loop: Header=BB2_6 Depth=1
	v_lshrrev_b32_e32 v4, 11, v4
	s_delay_alu instid0(VALU_DEP_1) | instskip(SKIP_1) | instid1(VALU_DEP_2)
	v_cvt_f64_u32_e32 v[9:10], v4
	v_cvt_f64_u32_e32 v[3:4], v3
	v_ldexp_f64 v[9:10], v[9:10], 32
	s_delay_alu instid0(VALU_DEP_1) | instskip(NEXT) | instid1(VALU_DEP_1)
	v_add_f64 v[3:4], v[9:10], v[3:4]
	v_fma_f64 v[3:4], 0x3ca00000, v[3:4], 0x3ca00000
	s_delay_alu instid0(VALU_DEP_1) | instskip(NEXT) | instid1(VALU_DEP_1)
	v_cvt_f32_f64_e32 v3, v[3:4]
	v_cvt_f64_f32_e32 v[3:4], v3
	s_delay_alu instid0(VALU_DEP_1) | instskip(NEXT) | instid1(VALU_DEP_1)
	v_fma_f64 v[3:4], v[14:15], v[3:4], s[10:11]
	v_cvt_f32_f64_e32 v9, v[3:4]
	s_delay_alu instid0(VALU_DEP_1)
	v_mul_f32_e32 v8, v8, v9
	s_branch .LBB2_4
.LBB2_23:
	s_endpgm
	.section	.rodata,"a",@progbits
	.p2align	6, 0x0
	.amdhsa_kernel _ZN2at6native28rrelu_with_noise_cuda_kernelIfLi2EZNS0_28_rrelu_with_noise_cuda_trainIfEEvRNS_6TensorERKS3_S4_RKN3c106ScalarESA_St8optionalINS_9GeneratorEEEUlP25hiprandStatePhilox4_32_10E_EEviNS_15PhiloxCudaStateEPT_PKSI_SJ_ddRKT1_
		.amdhsa_group_segment_fixed_size 0
		.amdhsa_private_segment_fixed_size 0
		.amdhsa_kernarg_size 344
		.amdhsa_user_sgpr_count 15
		.amdhsa_user_sgpr_dispatch_ptr 0
		.amdhsa_user_sgpr_queue_ptr 0
		.amdhsa_user_sgpr_kernarg_segment_ptr 1
		.amdhsa_user_sgpr_dispatch_id 0
		.amdhsa_user_sgpr_private_segment_size 0
		.amdhsa_wavefront_size32 1
		.amdhsa_uses_dynamic_stack 0
		.amdhsa_enable_private_segment 0
		.amdhsa_system_sgpr_workgroup_id_x 1
		.amdhsa_system_sgpr_workgroup_id_y 0
		.amdhsa_system_sgpr_workgroup_id_z 0
		.amdhsa_system_sgpr_workgroup_info 0
		.amdhsa_system_vgpr_workitem_id 0
		.amdhsa_next_free_vgpr 43
		.amdhsa_next_free_sgpr 17
		.amdhsa_reserve_vcc 1
		.amdhsa_float_round_mode_32 0
		.amdhsa_float_round_mode_16_64 0
		.amdhsa_float_denorm_mode_32 3
		.amdhsa_float_denorm_mode_16_64 3
		.amdhsa_dx10_clamp 1
		.amdhsa_ieee_mode 1
		.amdhsa_fp16_overflow 0
		.amdhsa_workgroup_processor_mode 1
		.amdhsa_memory_ordered 1
		.amdhsa_forward_progress 0
		.amdhsa_shared_vgpr_count 0
		.amdhsa_exception_fp_ieee_invalid_op 0
		.amdhsa_exception_fp_denorm_src 0
		.amdhsa_exception_fp_ieee_div_zero 0
		.amdhsa_exception_fp_ieee_overflow 0
		.amdhsa_exception_fp_ieee_underflow 0
		.amdhsa_exception_fp_ieee_inexact 0
		.amdhsa_exception_int_div_zero 0
	.end_amdhsa_kernel
	.section	.text._ZN2at6native28rrelu_with_noise_cuda_kernelIfLi2EZNS0_28_rrelu_with_noise_cuda_trainIfEEvRNS_6TensorERKS3_S4_RKN3c106ScalarESA_St8optionalINS_9GeneratorEEEUlP25hiprandStatePhilox4_32_10E_EEviNS_15PhiloxCudaStateEPT_PKSI_SJ_ddRKT1_,"axG",@progbits,_ZN2at6native28rrelu_with_noise_cuda_kernelIfLi2EZNS0_28_rrelu_with_noise_cuda_trainIfEEvRNS_6TensorERKS3_S4_RKN3c106ScalarESA_St8optionalINS_9GeneratorEEEUlP25hiprandStatePhilox4_32_10E_EEviNS_15PhiloxCudaStateEPT_PKSI_SJ_ddRKT1_,comdat
.Lfunc_end2:
	.size	_ZN2at6native28rrelu_with_noise_cuda_kernelIfLi2EZNS0_28_rrelu_with_noise_cuda_trainIfEEvRNS_6TensorERKS3_S4_RKN3c106ScalarESA_St8optionalINS_9GeneratorEEEUlP25hiprandStatePhilox4_32_10E_EEviNS_15PhiloxCudaStateEPT_PKSI_SJ_ddRKT1_, .Lfunc_end2-_ZN2at6native28rrelu_with_noise_cuda_kernelIfLi2EZNS0_28_rrelu_with_noise_cuda_trainIfEEvRNS_6TensorERKS3_S4_RKN3c106ScalarESA_St8optionalINS_9GeneratorEEEUlP25hiprandStatePhilox4_32_10E_EEviNS_15PhiloxCudaStateEPT_PKSI_SJ_ddRKT1_
                                        ; -- End function
	.section	.AMDGPU.csdata,"",@progbits
; Kernel info:
; codeLenInByte = 2252
; NumSgprs: 19
; NumVgprs: 43
; ScratchSize: 0
; MemoryBound: 0
; FloatMode: 240
; IeeeMode: 1
; LDSByteSize: 0 bytes/workgroup (compile time only)
; SGPRBlocks: 2
; VGPRBlocks: 5
; NumSGPRsForWavesPerEU: 19
; NumVGPRsForWavesPerEU: 43
; Occupancy: 16
; WaveLimiterHint : 0
; COMPUTE_PGM_RSRC2:SCRATCH_EN: 0
; COMPUTE_PGM_RSRC2:USER_SGPR: 15
; COMPUTE_PGM_RSRC2:TRAP_HANDLER: 0
; COMPUTE_PGM_RSRC2:TGID_X_EN: 1
; COMPUTE_PGM_RSRC2:TGID_Y_EN: 0
; COMPUTE_PGM_RSRC2:TGID_Z_EN: 0
; COMPUTE_PGM_RSRC2:TIDIG_COMP_CNT: 0
	.section	.text._ZN2at6native28rrelu_with_noise_cuda_kernelIfLi4EZNS0_28_rrelu_with_noise_cuda_trainIfEEvRNS_6TensorERKS3_S4_RKN3c106ScalarESA_St8optionalINS_9GeneratorEEEUlP25hiprandStatePhilox4_32_10E0_EEviNS_15PhiloxCudaStateEPT_PKSI_SJ_ddRKT1_,"axG",@progbits,_ZN2at6native28rrelu_with_noise_cuda_kernelIfLi4EZNS0_28_rrelu_with_noise_cuda_trainIfEEvRNS_6TensorERKS3_S4_RKN3c106ScalarESA_St8optionalINS_9GeneratorEEEUlP25hiprandStatePhilox4_32_10E0_EEviNS_15PhiloxCudaStateEPT_PKSI_SJ_ddRKT1_,comdat
	.protected	_ZN2at6native28rrelu_with_noise_cuda_kernelIfLi4EZNS0_28_rrelu_with_noise_cuda_trainIfEEvRNS_6TensorERKS3_S4_RKN3c106ScalarESA_St8optionalINS_9GeneratorEEEUlP25hiprandStatePhilox4_32_10E0_EEviNS_15PhiloxCudaStateEPT_PKSI_SJ_ddRKT1_ ; -- Begin function _ZN2at6native28rrelu_with_noise_cuda_kernelIfLi4EZNS0_28_rrelu_with_noise_cuda_trainIfEEvRNS_6TensorERKS3_S4_RKN3c106ScalarESA_St8optionalINS_9GeneratorEEEUlP25hiprandStatePhilox4_32_10E0_EEviNS_15PhiloxCudaStateEPT_PKSI_SJ_ddRKT1_
	.globl	_ZN2at6native28rrelu_with_noise_cuda_kernelIfLi4EZNS0_28_rrelu_with_noise_cuda_trainIfEEvRNS_6TensorERKS3_S4_RKN3c106ScalarESA_St8optionalINS_9GeneratorEEEUlP25hiprandStatePhilox4_32_10E0_EEviNS_15PhiloxCudaStateEPT_PKSI_SJ_ddRKT1_
	.p2align	8
	.type	_ZN2at6native28rrelu_with_noise_cuda_kernelIfLi4EZNS0_28_rrelu_with_noise_cuda_trainIfEEvRNS_6TensorERKS3_S4_RKN3c106ScalarESA_St8optionalINS_9GeneratorEEEUlP25hiprandStatePhilox4_32_10E0_EEviNS_15PhiloxCudaStateEPT_PKSI_SJ_ddRKT1_,@function
_ZN2at6native28rrelu_with_noise_cuda_kernelIfLi4EZNS0_28_rrelu_with_noise_cuda_trainIfEEvRNS_6TensorERKS3_S4_RKN3c106ScalarESA_St8optionalINS_9GeneratorEEEUlP25hiprandStatePhilox4_32_10E0_EEviNS_15PhiloxCudaStateEPT_PKSI_SJ_ddRKT1_: ; @_ZN2at6native28rrelu_with_noise_cuda_kernelIfLi4EZNS0_28_rrelu_with_noise_cuda_trainIfEEvRNS_6TensorERKS3_S4_RKN3c106ScalarESA_St8optionalINS_9GeneratorEEEUlP25hiprandStatePhilox4_32_10E0_EEviNS_15PhiloxCudaStateEPT_PKSI_SJ_ddRKT1_
; %bb.0:
	s_clause 0x1
	s_load_b128 s[4:7], s[0:1], 0x8
	s_load_b32 s2, s[0:1], 0x20
	s_waitcnt lgkmcnt(0)
	v_dual_mov_b32 v1, s6 :: v_dual_mov_b32 v2, s7
	v_dual_mov_b32 v13, s5 :: v_dual_mov_b32 v12, s4
	s_bitcmp0_b32 s2, 0
	s_cbranch_scc1 .LBB3_2
; %bb.1:
	v_dual_mov_b32 v1, s6 :: v_dual_mov_b32 v2, s7
	v_dual_mov_b32 v3, s4 :: v_dual_mov_b32 v4, s5
	s_load_b64 s[2:3], s[0:1], 0x18
	flat_load_b64 v[1:2], v[1:2]
	flat_load_b64 v[12:13], v[3:4]
	s_waitcnt vmcnt(1) lgkmcnt(0)
	v_add_co_u32 v1, vcc_lo, v1, s2
	v_add_co_ci_u32_e32 v2, vcc_lo, s3, v2, vcc_lo
.LBB3_2:
	s_clause 0x2
	s_load_b32 s2, s[0:1], 0x64
	s_load_b32 s14, s[0:1], 0x58
	;; [unrolled: 1-line block ×3, first 2 shown]
	s_waitcnt lgkmcnt(0)
	s_and_b32 s16, s2, 0xffff
	s_add_i32 s7, s3, -1
	s_mul_i32 s2, s14, s16
	s_mul_i32 s12, s15, s16
	s_lshl_b32 s2, s2, 2
	s_abs_i32 s8, s7
	s_abs_i32 s4, s2
	v_add_nc_u32_e32 v18, s12, v0
	v_cvt_f32_u32_e32 v3, s4
	s_sub_i32 s6, 0, s4
	s_delay_alu instid0(VALU_DEP_1) | instskip(SKIP_2) | instid1(VALU_DEP_1)
	v_rcp_iflag_f32_e32 v3, v3
	s_waitcnt_depctr 0xfff
	v_mul_f32_e32 v3, 0x4f7ffffe, v3
	v_cvt_u32_f32_e32 v3, v3
	s_delay_alu instid0(VALU_DEP_1) | instskip(NEXT) | instid1(VALU_DEP_1)
	v_readfirstlane_b32 s5, v3
	s_mul_i32 s6, s6, s5
	s_delay_alu instid0(SALU_CYCLE_1) | instskip(NEXT) | instid1(SALU_CYCLE_1)
	s_mul_hi_u32 s6, s5, s6
	s_add_i32 s5, s5, s6
	s_xor_b32 s6, s7, s2
	s_mul_hi_u32 s5, s8, s5
	s_ashr_i32 s6, s6, 31
	s_mul_i32 s7, s5, s4
	s_delay_alu instid0(SALU_CYCLE_1)
	s_sub_i32 s7, s8, s7
	s_add_i32 s8, s5, 1
	s_sub_i32 s9, s7, s4
	s_cmp_ge_u32 s7, s4
	s_cselect_b32 s5, s8, s5
	s_cselect_b32 s7, s9, s7
	s_add_i32 s8, s5, 1
	s_cmp_ge_u32 s7, s4
	s_cselect_b32 s4, s8, s5
	s_delay_alu instid0(SALU_CYCLE_1) | instskip(NEXT) | instid1(SALU_CYCLE_1)
	s_xor_b32 s4, s4, s6
	s_sub_i32 s4, s4, s6
	s_delay_alu instid0(SALU_CYCLE_1) | instskip(NEXT) | instid1(SALU_CYCLE_1)
	s_add_i32 s4, s4, 1
	s_mul_i32 s13, s2, s4
	s_mov_b32 s4, exec_lo
	v_cmpx_gt_i32_e64 s13, v18
	s_cbranch_execz .LBB3_31
; %bb.3:
	v_alignbit_b32 v19, v2, v1, 2
	v_mad_u64_u32 v[5:6], null, 0xcd9e8d57, v18, 0
	v_lshrrev_b32_e32 v20, 2, v2
	v_ashrrev_i32_e32 v21, 31, v18
	s_delay_alu instid0(VALU_DEP_4) | instskip(SKIP_4) | instid1(VALU_DEP_4)
	v_mad_u64_u32 v[3:4], null, 0xd2511f53, v19, 0
	s_waitcnt vmcnt(0)
	v_dual_mov_b32 v10, v13 :: v_dual_add_nc_u32 v39, 0x8ff34781, v12
	v_add_co_u32 v23, null, 0x9e3779b9, v12
	v_add_co_u32 v24, null, 0x3c6ef372, v12
	v_xor_b32_e32 v2, v4, v13
	v_xor3_b32 v4, v12, v6, v20
	v_add_co_u32 v22, null, 0xbb67ae85, v10
	v_add_co_u32 v25, null, 0x76cf5d0a, v10
	s_delay_alu instid0(VALU_DEP_4) | instskip(NEXT) | instid1(VALU_DEP_4)
	v_xor_b32_e32 v2, v2, v21
	v_mad_u64_u32 v[6:7], null, 0xd2511f53, v4, 0
	v_add_co_u32 v26, null, 0x32370b8f, v10
	s_delay_alu instid0(VALU_DEP_3) | instskip(SKIP_1) | instid1(VALU_DEP_4)
	v_mad_u64_u32 v[8:9], null, 0xcd9e8d57, v2, 0
	v_add_co_u32 v27, null, 0xdaa66d2b, v12
	v_xor3_b32 v4, v22, v7, v3
	v_add_co_u32 v28, null, 0x78dde6e4, v12
	v_add_co_u32 v29, null, 0xed9eba14, v10
	v_xor3_b32 v7, v23, v9, v5
	s_delay_alu instid0(VALU_DEP_4) | instskip(SKIP_1) | instid1(VALU_DEP_3)
	v_mad_u64_u32 v[2:3], null, 0xcd9e8d57, v4, 0
	v_add_co_u32 v30, null, 0xa9066899, v10
	v_mad_u64_u32 v[4:5], null, 0xd2511f53, v7, 0
	v_add_co_u32 v31, null, 0x1715609d, v12
	s_delay_alu instid0(VALU_DEP_4) | instskip(SKIP_4) | instid1(VALU_DEP_4)
	v_xor3_b32 v3, v24, v3, v8
	s_clause 0x1
	s_load_b256 s[4:11], s[0:1], 0x28
	s_load_b64 s[0:1], s[0:1], 0x48
	v_add_co_u32 v32, null, 0xb54cda56, v12
	v_xor3_b32 v9, v25, v5, v6
	v_mad_u64_u32 v[5:6], null, 0xd2511f53, v3, 0
	v_add_co_u32 v33, null, 0x646e171e, v10
	s_delay_alu instid0(VALU_DEP_3) | instskip(SKIP_1) | instid1(VALU_DEP_4)
	v_mad_u64_u32 v[7:8], null, 0xcd9e8d57, v9, 0
	v_add_co_u32 v34, null, 0x1fd5c5a3, v10
	v_xor3_b32 v4, v26, v6, v4
	v_add_co_u32 v35, null, 0x5384540f, v12
	v_add_co_u32 v36, null, 0xf1bbcdc8, v12
	v_xor3_b32 v6, v27, v8, v2
	s_delay_alu instid0(VALU_DEP_4)
	v_mad_u64_u32 v[2:3], null, 0xcd9e8d57, v4, 0
	s_waitcnt lgkmcnt(0)
	v_add_f64 v[14:15], s[0:1], -s[10:11]
	v_add_co_u32 v37, null, 0xdb3d7428, v10
	v_mad_u64_u32 v[8:9], null, 0xd2511f53, v6, 0
	v_add_nc_u32_e32 v40, 0x96a522ad, v13
	v_xor3_b32 v6, v28, v3, v7
	s_lshl_b32 s1, s14, 1
	s_mul_i32 s17, s14, 3
	v_and_b32_e32 v38, 3, v1
	s_add_i32 s1, s15, s1
	s_delay_alu instid0(VALU_DEP_4) | instskip(SKIP_3) | instid1(VALU_DEP_2)
	v_xor3_b32 v7, v29, v9, v5
	v_mad_u64_u32 v[3:4], null, 0xd2511f53, v6, 0
	s_add_i32 s17, s15, s17
	s_add_i32 s15, s15, s14
	v_mad_u64_u32 v[5:6], null, 0xcd9e8d57, v7, 0
	s_mov_b32 s0, 0
	s_mul_i32 s1, s1, s16
	s_delay_alu instid0(VALU_DEP_2) | instskip(SKIP_2) | instid1(VALU_DEP_2)
	v_xor3_b32 v4, v30, v4, v8
	s_mul_i32 s14, s17, s16
	s_mul_i32 s15, s15, s16
	v_xor3_b32 v2, v31, v6, v2
	s_delay_alu instid0(VALU_DEP_2) | instskip(NEXT) | instid1(VALU_DEP_2)
	v_mad_u64_u32 v[6:7], null, 0xcd9e8d57, v4, 0
	v_mad_u64_u32 v[8:9], null, 0xd2511f53, v2, 0
	s_delay_alu instid0(VALU_DEP_2) | instskip(NEXT) | instid1(VALU_DEP_2)
	v_xor3_b32 v4, v32, v7, v5
	v_xor3_b32 v7, v33, v9, v3
	s_delay_alu instid0(VALU_DEP_2) | instskip(NEXT) | instid1(VALU_DEP_2)
	v_mad_u64_u32 v[2:3], null, 0xd2511f53, v4, 0
	v_mad_u64_u32 v[4:5], null, 0xcd9e8d57, v7, 0
	s_delay_alu instid0(VALU_DEP_2) | instskip(NEXT) | instid1(VALU_DEP_2)
	v_xor3_b32 v3, v34, v3, v8
	;; [unrolled: 6-line block ×3, first 2 shown]
	v_xor3_b32 v4, v37, v8, v2
	s_delay_alu instid0(VALU_DEP_2) | instskip(NEXT) | instid1(VALU_DEP_2)
	v_mad_u64_u32 v[8:9], null, 0xd2511f53, v3, 0
	v_mad_u64_u32 v[2:3], null, 0xcd9e8d57, v4, 0
	s_delay_alu instid0(VALU_DEP_2) | instskip(NEXT) | instid1(VALU_DEP_2)
	v_mov_b32_e32 v4, v8
	v_xor3_b32 v1, v3, v5, v39
	s_delay_alu instid0(VALU_DEP_4)
	v_xor3_b32 v3, v9, v7, v40
	s_branch .LBB3_6
.LBB3_4:                                ;   in Loop: Header=BB3_6 Depth=1
	s_or_b32 exec_lo, exec_lo, s17
	v_add_co_u32 v9, vcc_lo, s4, v1
	v_add_co_ci_u32_e32 v10, vcc_lo, s5, v2, vcc_lo
	v_add_co_u32 v1, vcc_lo, s8, v1
	v_add_co_ci_u32_e32 v2, vcc_lo, s9, v2, vcc_lo
	global_store_b32 v[9:10], v3, off
	global_store_b32 v[1:2], v8, off
.LBB3_5:                                ;   in Loop: Header=BB3_6 Depth=1
	s_or_b32 exec_lo, exec_lo, s16
	v_mov_b32_e32 v8, v16
	v_add_nc_u32_e32 v0, s2, v0
	s_waitcnt_vscnt null, 0x0
	s_barrier
	buffer_gl0_inv
	v_add_nc_u32_e32 v1, s12, v0
	s_delay_alu instid0(VALU_DEP_1) | instskip(SKIP_3) | instid1(SALU_CYCLE_1)
	v_cmp_le_i32_e32 vcc_lo, s13, v1
	v_dual_mov_b32 v1, v5 :: v_dual_mov_b32 v2, v6
	v_dual_mov_b32 v3, v7 :: v_dual_mov_b32 v4, v8
	s_or_b32 s0, vcc_lo, s0
	s_and_not1_b32 exec_lo, exec_lo, s0
	s_cbranch_execz .LBB3_31
.LBB3_6:                                ; =>This Inner Loop Header: Depth=1
	v_add_co_u32 v19, vcc_lo, v19, 1
	s_delay_alu instid0(VALU_DEP_1) | instskip(SKIP_2) | instid1(VALU_DEP_1)
	v_cndmask_b32_e64 v5, 0, 1, vcc_lo
	v_add_co_ci_u32_e32 v20, vcc_lo, 0, v20, vcc_lo
	s_mov_b32 s16, exec_lo
	v_cmp_eq_u32_e32 vcc_lo, 0, v20
	s_delay_alu instid0(VALU_DEP_3) | instskip(NEXT) | instid1(VALU_DEP_1)
	v_cndmask_b32_e32 v5, 0, v5, vcc_lo
	v_add_nc_u32_e32 v18, v5, v18
	s_delay_alu instid0(VALU_DEP_1) | instskip(SKIP_2) | instid1(VALU_DEP_2)
	v_cmp_eq_u32_e32 vcc_lo, 0, v18
	v_cndmask_b32_e32 v5, 0, v5, vcc_lo
	v_mad_u64_u32 v[7:8], null, 0xcd9e8d57, v18, 0
	v_add_nc_u32_e32 v21, v5, v21
	v_mad_u64_u32 v[5:6], null, 0xd2511f53, v19, 0
	s_delay_alu instid0(VALU_DEP_3) | instskip(NEXT) | instid1(VALU_DEP_2)
	v_xor3_b32 v10, v8, v12, v20
	v_xor_b32_e32 v6, v6, v13
	s_delay_alu instid0(VALU_DEP_2) | instskip(NEXT) | instid1(VALU_DEP_2)
	v_mad_u64_u32 v[8:9], null, 0xd2511f53, v10, 0
	v_xor_b32_e32 v6, v21, v6
	s_delay_alu instid0(VALU_DEP_2) | instskip(NEXT) | instid1(VALU_DEP_2)
	v_xor3_b32 v9, v22, v9, v5
	v_mad_u64_u32 v[10:11], null, 0xcd9e8d57, v6, 0
	s_delay_alu instid0(VALU_DEP_2) | instskip(NEXT) | instid1(VALU_DEP_2)
	v_mad_u64_u32 v[5:6], null, 0xcd9e8d57, v9, 0
	v_xor3_b32 v7, v23, v11, v7
	s_delay_alu instid0(VALU_DEP_2) | instskip(NEXT) | instid1(VALU_DEP_2)
	v_xor3_b32 v9, v24, v6, v10
	v_mad_u64_u32 v[16:17], null, 0xd2511f53, v7, 0
	s_delay_alu instid0(VALU_DEP_2) | instskip(NEXT) | instid1(VALU_DEP_2)
	v_mad_u64_u32 v[6:7], null, 0xd2511f53, v9, 0
	v_xor3_b32 v10, v25, v17, v8
	s_delay_alu instid0(VALU_DEP_2) | instskip(NEXT) | instid1(VALU_DEP_2)
	v_xor3_b32 v7, v26, v7, v16
	v_mad_u64_u32 v[8:9], null, 0xcd9e8d57, v10, 0
	s_delay_alu instid0(VALU_DEP_1) | instskip(NEXT) | instid1(VALU_DEP_3)
	v_xor3_b32 v5, v27, v9, v5
	v_mad_u64_u32 v[9:10], null, 0xcd9e8d57, v7, 0
	s_delay_alu instid0(VALU_DEP_2) | instskip(NEXT) | instid1(VALU_DEP_2)
	v_mad_u64_u32 v[16:17], null, 0xd2511f53, v5, 0
	v_xor3_b32 v7, v28, v10, v8
	s_delay_alu instid0(VALU_DEP_2) | instskip(NEXT) | instid1(VALU_DEP_2)
	v_xor3_b32 v10, v29, v17, v6
	v_mad_u64_u32 v[5:6], null, 0xd2511f53, v7, 0
	s_delay_alu instid0(VALU_DEP_2) | instskip(NEXT) | instid1(VALU_DEP_2)
	v_mad_u64_u32 v[7:8], null, 0xcd9e8d57, v10, 0
	v_xor3_b32 v6, v30, v6, v16
	s_delay_alu instid0(VALU_DEP_2) | instskip(NEXT) | instid1(VALU_DEP_2)
	v_xor3_b32 v16, v31, v8, v9
	v_mad_u64_u32 v[8:9], null, 0xcd9e8d57, v6, 0
	s_delay_alu instid0(VALU_DEP_2) | instskip(NEXT) | instid1(VALU_DEP_2)
	v_mad_u64_u32 v[10:11], null, 0xd2511f53, v16, 0
	v_xor3_b32 v7, v32, v9, v7
	s_delay_alu instid0(VALU_DEP_2) | instskip(NEXT) | instid1(VALU_DEP_2)
	v_xor3_b32 v9, v33, v11, v5
	v_mad_u64_u32 v[5:6], null, 0xd2511f53, v7, 0
	s_delay_alu instid0(VALU_DEP_2) | instskip(NEXT) | instid1(VALU_DEP_2)
	v_mad_u64_u32 v[16:17], null, 0xcd9e8d57, v9, 0
	v_xor3_b32 v6, v34, v6, v10
	s_delay_alu instid0(VALU_DEP_2) | instskip(NEXT) | instid1(VALU_DEP_2)
	v_xor3_b32 v7, v35, v17, v8
	v_mad_u64_u32 v[8:9], null, 0xcd9e8d57, v6, 0
	s_delay_alu instid0(VALU_DEP_2) | instskip(NEXT) | instid1(VALU_DEP_2)
	v_mad_u64_u32 v[10:11], null, 0xd2511f53, v7, 0
	v_xor3_b32 v6, v36, v9, v16
	s_delay_alu instid0(VALU_DEP_2) | instskip(NEXT) | instid1(VALU_DEP_2)
	v_xor3_b32 v5, v37, v11, v5
	v_mad_u64_u32 v[16:17], null, 0xd2511f53, v6, 0
	s_delay_alu instid0(VALU_DEP_2) | instskip(NEXT) | instid1(VALU_DEP_2)
	v_mad_u64_u32 v[6:7], null, 0xcd9e8d57, v5, 0
	v_xor3_b32 v11, v17, v10, v40
	s_delay_alu instid0(VALU_DEP_2) | instskip(NEXT) | instid1(VALU_DEP_2)
	v_xor3_b32 v5, v7, v8, v39
	v_mov_b32_e32 v7, v11
	v_cmpx_lt_i32_e32 1, v38
	s_xor_b32 s16, exec_lo, s16
	s_cbranch_execz .LBB3_12
; %bb.7:                                ;   in Loop: Header=BB3_6 Depth=1
	s_mov_b32 s17, exec_lo
	v_cmpx_lt_i32_e32 2, v38
	s_xor_b32 s17, exec_lo, s17
; %bb.8:                                ;   in Loop: Header=BB3_6 Depth=1
	v_dual_mov_b32 v8, v4 :: v_dual_mov_b32 v9, v5
	v_mov_b32_e32 v10, v6
	s_delay_alu instid0(VALU_DEP_2) | instskip(NEXT) | instid1(VALU_DEP_2)
	v_dual_mov_b32 v1, v8 :: v_dual_mov_b32 v2, v9
	v_dual_mov_b32 v3, v10 :: v_dual_mov_b32 v4, v11
; %bb.9:                                ;   in Loop: Header=BB3_6 Depth=1
	s_and_not1_saveexec_b32 s17, s17
; %bb.10:                               ;   in Loop: Header=BB3_6 Depth=1
	s_delay_alu instid0(VALU_DEP_1)
	v_dual_mov_b32 v1, v3 :: v_dual_mov_b32 v2, v4
	v_dual_mov_b32 v3, v5 :: v_dual_mov_b32 v4, v6
; %bb.11:                               ;   in Loop: Header=BB3_6 Depth=1
	s_or_b32 exec_lo, exec_lo, s17
.LBB3_12:                               ;   in Loop: Header=BB3_6 Depth=1
	s_and_not1_saveexec_b32 s16, s16
	s_cbranch_execz .LBB3_16
; %bb.13:                               ;   in Loop: Header=BB3_6 Depth=1
	s_mov_b32 s17, exec_lo
	v_cmpx_eq_u32_e32 1, v38
; %bb.14:                               ;   in Loop: Header=BB3_6 Depth=1
	v_dual_mov_b32 v1, v2 :: v_dual_mov_b32 v2, v3
	v_dual_mov_b32 v3, v4 :: v_dual_mov_b32 v4, v5
; %bb.15:                               ;   in Loop: Header=BB3_6 Depth=1
	s_or_b32 exec_lo, exec_lo, s17
.LBB3_16:                               ;   in Loop: Header=BB3_6 Depth=1
	s_delay_alu instid0(SALU_CYCLE_1) | instskip(SKIP_2) | instid1(VALU_DEP_1)
	s_or_b32 exec_lo, exec_lo, s16
	v_add_nc_u32_e32 v8, s12, v0
	s_mov_b32 s16, exec_lo
	v_cmpx_gt_i32_e64 s3, v8
	s_cbranch_execz .LBB3_20
; %bb.17:                               ;   in Loop: Header=BB3_6 Depth=1
	v_ashrrev_i32_e32 v9, 31, v8
	s_mov_b32 s17, exec_lo
	s_delay_alu instid0(VALU_DEP_1) | instskip(NEXT) | instid1(VALU_DEP_1)
	v_lshlrev_b64 v[8:9], 2, v[8:9]
	v_add_co_u32 v10, vcc_lo, s6, v8
	s_delay_alu instid0(VALU_DEP_2)
	v_add_co_ci_u32_e32 v11, vcc_lo, s7, v9, vcc_lo
	global_load_b32 v10, v[10:11], off
	v_mov_b32_e32 v11, 1.0
	s_waitcnt vmcnt(0)
	v_cmpx_ge_f32_e32 0, v10
; %bb.18:                               ;   in Loop: Header=BB3_6 Depth=1
	v_cvt_f32_u32_e32 v1, v1
	s_delay_alu instid0(VALU_DEP_1) | instskip(NEXT) | instid1(VALU_DEP_1)
	v_fmaak_f32 v1, 0x2f800000, v1, 0x2f800000
	v_cvt_f64_f32_e32 v[41:42], v1
	s_delay_alu instid0(VALU_DEP_1) | instskip(NEXT) | instid1(VALU_DEP_1)
	v_fma_f64 v[41:42], v[14:15], v[41:42], s[10:11]
	v_cvt_f32_f64_e32 v11, v[41:42]
	s_delay_alu instid0(VALU_DEP_1)
	v_mul_f32_e32 v10, v10, v11
; %bb.19:                               ;   in Loop: Header=BB3_6 Depth=1
	s_or_b32 exec_lo, exec_lo, s17
	v_add_co_u32 v41, vcc_lo, s4, v8
	v_add_co_ci_u32_e32 v42, vcc_lo, s5, v9, vcc_lo
	v_add_co_u32 v8, vcc_lo, s8, v8
	v_add_co_ci_u32_e32 v9, vcc_lo, s9, v9, vcc_lo
	global_store_b32 v[41:42], v10, off
	global_store_b32 v[8:9], v11, off
.LBB3_20:                               ;   in Loop: Header=BB3_6 Depth=1
	s_or_b32 exec_lo, exec_lo, s16
	v_add_nc_u32_e32 v8, s15, v0
	s_mov_b32 s16, exec_lo
	s_delay_alu instid0(VALU_DEP_1)
	v_cmpx_gt_i32_e64 s3, v8
	s_cbranch_execz .LBB3_24
; %bb.21:                               ;   in Loop: Header=BB3_6 Depth=1
	v_ashrrev_i32_e32 v9, 31, v8
	s_mov_b32 s17, exec_lo
	s_delay_alu instid0(VALU_DEP_1) | instskip(NEXT) | instid1(VALU_DEP_1)
	v_lshlrev_b64 v[8:9], 2, v[8:9]
	v_add_co_u32 v10, vcc_lo, s6, v8
	s_delay_alu instid0(VALU_DEP_2)
	v_add_co_ci_u32_e32 v11, vcc_lo, s7, v9, vcc_lo
	global_load_b32 v1, v[10:11], off
	v_mov_b32_e32 v10, 1.0
	s_waitcnt vmcnt(0)
	v_cmpx_ge_f32_e32 0, v1
; %bb.22:                               ;   in Loop: Header=BB3_6 Depth=1
	v_cvt_f32_u32_e32 v2, v2
	s_delay_alu instid0(VALU_DEP_1) | instskip(NEXT) | instid1(VALU_DEP_1)
	v_fmaak_f32 v2, 0x2f800000, v2, 0x2f800000
	v_cvt_f64_f32_e32 v[10:11], v2
	s_delay_alu instid0(VALU_DEP_1) | instskip(NEXT) | instid1(VALU_DEP_1)
	v_fma_f64 v[10:11], v[14:15], v[10:11], s[10:11]
	v_cvt_f32_f64_e32 v10, v[10:11]
	s_delay_alu instid0(VALU_DEP_1)
	v_mul_f32_e32 v1, v1, v10
; %bb.23:                               ;   in Loop: Header=BB3_6 Depth=1
	s_or_b32 exec_lo, exec_lo, s17
	v_add_co_u32 v41, vcc_lo, s4, v8
	v_add_co_ci_u32_e32 v42, vcc_lo, s5, v9, vcc_lo
	v_add_co_u32 v8, vcc_lo, s8, v8
	v_add_co_ci_u32_e32 v9, vcc_lo, s9, v9, vcc_lo
	global_store_b32 v[41:42], v1, off
	global_store_b32 v[8:9], v10, off
.LBB3_24:                               ;   in Loop: Header=BB3_6 Depth=1
	s_or_b32 exec_lo, exec_lo, s16
	v_add_nc_u32_e32 v1, s1, v0
	s_mov_b32 s16, exec_lo
	s_delay_alu instid0(VALU_DEP_1)
	;; [unrolled: 37-line block ×3, first 2 shown]
	v_cmpx_gt_i32_e64 s3, v1
	s_cbranch_execz .LBB3_5
; %bb.29:                               ;   in Loop: Header=BB3_6 Depth=1
	v_ashrrev_i32_e32 v2, 31, v1
	s_mov_b32 s17, exec_lo
	s_delay_alu instid0(VALU_DEP_1) | instskip(NEXT) | instid1(VALU_DEP_1)
	v_lshlrev_b64 v[1:2], 2, v[1:2]
	v_add_co_u32 v8, vcc_lo, s6, v1
	s_delay_alu instid0(VALU_DEP_2)
	v_add_co_ci_u32_e32 v9, vcc_lo, s7, v2, vcc_lo
	global_load_b32 v3, v[8:9], off
	v_mov_b32_e32 v8, 1.0
	s_waitcnt vmcnt(0)
	v_cmpx_ge_f32_e32 0, v3
	s_cbranch_execz .LBB3_4
; %bb.30:                               ;   in Loop: Header=BB3_6 Depth=1
	v_cvt_f32_u32_e32 v4, v4
	s_delay_alu instid0(VALU_DEP_1) | instskip(NEXT) | instid1(VALU_DEP_1)
	v_fmaak_f32 v4, 0x2f800000, v4, 0x2f800000
	v_cvt_f64_f32_e32 v[8:9], v4
	s_delay_alu instid0(VALU_DEP_1) | instskip(NEXT) | instid1(VALU_DEP_1)
	v_fma_f64 v[8:9], v[14:15], v[8:9], s[10:11]
	v_cvt_f32_f64_e32 v8, v[8:9]
	s_delay_alu instid0(VALU_DEP_1)
	v_mul_f32_e32 v3, v3, v8
	s_branch .LBB3_4
.LBB3_31:
	s_endpgm
	.section	.rodata,"a",@progbits
	.p2align	6, 0x0
	.amdhsa_kernel _ZN2at6native28rrelu_with_noise_cuda_kernelIfLi4EZNS0_28_rrelu_with_noise_cuda_trainIfEEvRNS_6TensorERKS3_S4_RKN3c106ScalarESA_St8optionalINS_9GeneratorEEEUlP25hiprandStatePhilox4_32_10E0_EEviNS_15PhiloxCudaStateEPT_PKSI_SJ_ddRKT1_
		.amdhsa_group_segment_fixed_size 0
		.amdhsa_private_segment_fixed_size 0
		.amdhsa_kernarg_size 344
		.amdhsa_user_sgpr_count 15
		.amdhsa_user_sgpr_dispatch_ptr 0
		.amdhsa_user_sgpr_queue_ptr 0
		.amdhsa_user_sgpr_kernarg_segment_ptr 1
		.amdhsa_user_sgpr_dispatch_id 0
		.amdhsa_user_sgpr_private_segment_size 0
		.amdhsa_wavefront_size32 1
		.amdhsa_uses_dynamic_stack 0
		.amdhsa_enable_private_segment 0
		.amdhsa_system_sgpr_workgroup_id_x 1
		.amdhsa_system_sgpr_workgroup_id_y 0
		.amdhsa_system_sgpr_workgroup_id_z 0
		.amdhsa_system_sgpr_workgroup_info 0
		.amdhsa_system_vgpr_workitem_id 0
		.amdhsa_next_free_vgpr 43
		.amdhsa_next_free_sgpr 18
		.amdhsa_reserve_vcc 1
		.amdhsa_float_round_mode_32 0
		.amdhsa_float_round_mode_16_64 0
		.amdhsa_float_denorm_mode_32 3
		.amdhsa_float_denorm_mode_16_64 3
		.amdhsa_dx10_clamp 1
		.amdhsa_ieee_mode 1
		.amdhsa_fp16_overflow 0
		.amdhsa_workgroup_processor_mode 1
		.amdhsa_memory_ordered 1
		.amdhsa_forward_progress 0
		.amdhsa_shared_vgpr_count 0
		.amdhsa_exception_fp_ieee_invalid_op 0
		.amdhsa_exception_fp_denorm_src 0
		.amdhsa_exception_fp_ieee_div_zero 0
		.amdhsa_exception_fp_ieee_overflow 0
		.amdhsa_exception_fp_ieee_underflow 0
		.amdhsa_exception_fp_ieee_inexact 0
		.amdhsa_exception_int_div_zero 0
	.end_amdhsa_kernel
	.section	.text._ZN2at6native28rrelu_with_noise_cuda_kernelIfLi4EZNS0_28_rrelu_with_noise_cuda_trainIfEEvRNS_6TensorERKS3_S4_RKN3c106ScalarESA_St8optionalINS_9GeneratorEEEUlP25hiprandStatePhilox4_32_10E0_EEviNS_15PhiloxCudaStateEPT_PKSI_SJ_ddRKT1_,"axG",@progbits,_ZN2at6native28rrelu_with_noise_cuda_kernelIfLi4EZNS0_28_rrelu_with_noise_cuda_trainIfEEvRNS_6TensorERKS3_S4_RKN3c106ScalarESA_St8optionalINS_9GeneratorEEEUlP25hiprandStatePhilox4_32_10E0_EEviNS_15PhiloxCudaStateEPT_PKSI_SJ_ddRKT1_,comdat
.Lfunc_end3:
	.size	_ZN2at6native28rrelu_with_noise_cuda_kernelIfLi4EZNS0_28_rrelu_with_noise_cuda_trainIfEEvRNS_6TensorERKS3_S4_RKN3c106ScalarESA_St8optionalINS_9GeneratorEEEUlP25hiprandStatePhilox4_32_10E0_EEviNS_15PhiloxCudaStateEPT_PKSI_SJ_ddRKT1_, .Lfunc_end3-_ZN2at6native28rrelu_with_noise_cuda_kernelIfLi4EZNS0_28_rrelu_with_noise_cuda_trainIfEEvRNS_6TensorERKS3_S4_RKN3c106ScalarESA_St8optionalINS_9GeneratorEEEUlP25hiprandStatePhilox4_32_10E0_EEviNS_15PhiloxCudaStateEPT_PKSI_SJ_ddRKT1_
                                        ; -- End function
	.section	.AMDGPU.csdata,"",@progbits
; Kernel info:
; codeLenInByte = 2540
; NumSgprs: 20
; NumVgprs: 43
; ScratchSize: 0
; MemoryBound: 0
; FloatMode: 240
; IeeeMode: 1
; LDSByteSize: 0 bytes/workgroup (compile time only)
; SGPRBlocks: 2
; VGPRBlocks: 5
; NumSGPRsForWavesPerEU: 20
; NumVGPRsForWavesPerEU: 43
; Occupancy: 16
; WaveLimiterHint : 0
; COMPUTE_PGM_RSRC2:SCRATCH_EN: 0
; COMPUTE_PGM_RSRC2:USER_SGPR: 15
; COMPUTE_PGM_RSRC2:TRAP_HANDLER: 0
; COMPUTE_PGM_RSRC2:TGID_X_EN: 1
; COMPUTE_PGM_RSRC2:TGID_Y_EN: 0
; COMPUTE_PGM_RSRC2:TGID_Z_EN: 0
; COMPUTE_PGM_RSRC2:TIDIG_COMP_CNT: 0
	.section	.text._ZN2at6native28rrelu_with_noise_cuda_kernelIN3c104HalfELi2EZNS0_28_rrelu_with_noise_cuda_trainIS3_EEvRNS_6TensorERKS5_S6_RKNS2_6ScalarESB_St8optionalINS_9GeneratorEEEUlP25hiprandStatePhilox4_32_10E_EEviNS_15PhiloxCudaStateEPT_PKSJ_SK_ddRKT1_,"axG",@progbits,_ZN2at6native28rrelu_with_noise_cuda_kernelIN3c104HalfELi2EZNS0_28_rrelu_with_noise_cuda_trainIS3_EEvRNS_6TensorERKS5_S6_RKNS2_6ScalarESB_St8optionalINS_9GeneratorEEEUlP25hiprandStatePhilox4_32_10E_EEviNS_15PhiloxCudaStateEPT_PKSJ_SK_ddRKT1_,comdat
	.protected	_ZN2at6native28rrelu_with_noise_cuda_kernelIN3c104HalfELi2EZNS0_28_rrelu_with_noise_cuda_trainIS3_EEvRNS_6TensorERKS5_S6_RKNS2_6ScalarESB_St8optionalINS_9GeneratorEEEUlP25hiprandStatePhilox4_32_10E_EEviNS_15PhiloxCudaStateEPT_PKSJ_SK_ddRKT1_ ; -- Begin function _ZN2at6native28rrelu_with_noise_cuda_kernelIN3c104HalfELi2EZNS0_28_rrelu_with_noise_cuda_trainIS3_EEvRNS_6TensorERKS5_S6_RKNS2_6ScalarESB_St8optionalINS_9GeneratorEEEUlP25hiprandStatePhilox4_32_10E_EEviNS_15PhiloxCudaStateEPT_PKSJ_SK_ddRKT1_
	.globl	_ZN2at6native28rrelu_with_noise_cuda_kernelIN3c104HalfELi2EZNS0_28_rrelu_with_noise_cuda_trainIS3_EEvRNS_6TensorERKS5_S6_RKNS2_6ScalarESB_St8optionalINS_9GeneratorEEEUlP25hiprandStatePhilox4_32_10E_EEviNS_15PhiloxCudaStateEPT_PKSJ_SK_ddRKT1_
	.p2align	8
	.type	_ZN2at6native28rrelu_with_noise_cuda_kernelIN3c104HalfELi2EZNS0_28_rrelu_with_noise_cuda_trainIS3_EEvRNS_6TensorERKS5_S6_RKNS2_6ScalarESB_St8optionalINS_9GeneratorEEEUlP25hiprandStatePhilox4_32_10E_EEviNS_15PhiloxCudaStateEPT_PKSJ_SK_ddRKT1_,@function
_ZN2at6native28rrelu_with_noise_cuda_kernelIN3c104HalfELi2EZNS0_28_rrelu_with_noise_cuda_trainIS3_EEvRNS_6TensorERKS5_S6_RKNS2_6ScalarESB_St8optionalINS_9GeneratorEEEUlP25hiprandStatePhilox4_32_10E_EEviNS_15PhiloxCudaStateEPT_PKSJ_SK_ddRKT1_: ; @_ZN2at6native28rrelu_with_noise_cuda_kernelIN3c104HalfELi2EZNS0_28_rrelu_with_noise_cuda_trainIS3_EEvRNS_6TensorERKS5_S6_RKNS2_6ScalarESB_St8optionalINS_9GeneratorEEEUlP25hiprandStatePhilox4_32_10E_EEviNS_15PhiloxCudaStateEPT_PKSJ_SK_ddRKT1_
; %bb.0:
	s_clause 0x1
	s_load_b128 s[4:7], s[0:1], 0x8
	s_load_b32 s2, s[0:1], 0x20
	s_waitcnt lgkmcnt(0)
	v_dual_mov_b32 v1, s6 :: v_dual_mov_b32 v2, s7
	v_dual_mov_b32 v13, s5 :: v_dual_mov_b32 v12, s4
	s_bitcmp0_b32 s2, 0
	s_cbranch_scc1 .LBB4_2
; %bb.1:
	v_dual_mov_b32 v1, s6 :: v_dual_mov_b32 v2, s7
	v_dual_mov_b32 v3, s4 :: v_dual_mov_b32 v4, s5
	s_load_b64 s[2:3], s[0:1], 0x18
	flat_load_b64 v[1:2], v[1:2]
	flat_load_b64 v[12:13], v[3:4]
	s_waitcnt vmcnt(1) lgkmcnt(0)
	v_add_co_u32 v1, vcc_lo, v1, s2
	v_add_co_ci_u32_e32 v2, vcc_lo, s3, v2, vcc_lo
.LBB4_2:
	s_clause 0x2
	s_load_b32 s2, s[0:1], 0x64
	s_load_b32 s16, s[0:1], 0x58
	;; [unrolled: 1-line block ×3, first 2 shown]
	s_waitcnt lgkmcnt(0)
	s_and_b32 s14, s2, 0xffff
	s_add_i32 s7, s3, -1
	s_mul_i32 s2, s16, s14
	s_mul_i32 s12, s15, s14
	s_lshl_b32 s2, s2, 1
	s_abs_i32 s8, s7
	s_abs_i32 s4, s2
	v_add_nc_u32_e32 v18, s12, v0
	v_cvt_f32_u32_e32 v3, s4
	s_sub_i32 s6, 0, s4
	s_delay_alu instid0(VALU_DEP_1) | instskip(SKIP_2) | instid1(VALU_DEP_1)
	v_rcp_iflag_f32_e32 v3, v3
	s_waitcnt_depctr 0xfff
	v_mul_f32_e32 v3, 0x4f7ffffe, v3
	v_cvt_u32_f32_e32 v3, v3
	s_delay_alu instid0(VALU_DEP_1) | instskip(NEXT) | instid1(VALU_DEP_1)
	v_readfirstlane_b32 s5, v3
	s_mul_i32 s6, s6, s5
	s_delay_alu instid0(SALU_CYCLE_1) | instskip(NEXT) | instid1(SALU_CYCLE_1)
	s_mul_hi_u32 s6, s5, s6
	s_add_i32 s5, s5, s6
	s_xor_b32 s6, s7, s2
	s_mul_hi_u32 s5, s8, s5
	s_ashr_i32 s6, s6, 31
	s_mul_i32 s7, s5, s4
	s_delay_alu instid0(SALU_CYCLE_1)
	s_sub_i32 s7, s8, s7
	s_add_i32 s8, s5, 1
	s_sub_i32 s9, s7, s4
	s_cmp_ge_u32 s7, s4
	s_cselect_b32 s5, s8, s5
	s_cselect_b32 s7, s9, s7
	s_add_i32 s8, s5, 1
	s_cmp_ge_u32 s7, s4
	s_cselect_b32 s4, s8, s5
	s_delay_alu instid0(SALU_CYCLE_1) | instskip(NEXT) | instid1(SALU_CYCLE_1)
	s_xor_b32 s4, s4, s6
	s_sub_i32 s4, s4, s6
	s_delay_alu instid0(SALU_CYCLE_1) | instskip(NEXT) | instid1(SALU_CYCLE_1)
	s_add_i32 s4, s4, 1
	s_mul_i32 s13, s2, s4
	s_mov_b32 s4, exec_lo
	v_cmpx_gt_i32_e64 s13, v18
	s_cbranch_execz .LBB4_25
; %bb.3:
	v_alignbit_b32 v19, v2, v1, 2
	v_mad_u64_u32 v[5:6], null, 0xcd9e8d57, v18, 0
	v_lshrrev_b32_e32 v20, 2, v2
	v_ashrrev_i32_e32 v21, 31, v18
	s_delay_alu instid0(VALU_DEP_4) | instskip(SKIP_4) | instid1(VALU_DEP_4)
	v_mad_u64_u32 v[3:4], null, 0xd2511f53, v19, 0
	s_waitcnt vmcnt(0)
	v_dual_mov_b32 v10, v13 :: v_dual_add_nc_u32 v39, 0x96a522ad, v13
	v_add_co_u32 v23, null, 0x9e3779b9, v12
	v_add_co_u32 v24, null, 0x3c6ef372, v12
	v_xor_b32_e32 v2, v4, v13
	v_xor3_b32 v4, v12, v6, v20
	v_add_co_u32 v22, null, 0xbb67ae85, v10
	v_add_co_u32 v25, null, 0x76cf5d0a, v10
	s_delay_alu instid0(VALU_DEP_4) | instskip(NEXT) | instid1(VALU_DEP_4)
	v_xor_b32_e32 v2, v2, v21
	v_mad_u64_u32 v[6:7], null, 0xd2511f53, v4, 0
	v_add_co_u32 v26, null, 0x32370b8f, v10
	s_delay_alu instid0(VALU_DEP_3) | instskip(SKIP_1) | instid1(VALU_DEP_4)
	v_mad_u64_u32 v[8:9], null, 0xcd9e8d57, v2, 0
	v_add_co_u32 v27, null, 0xdaa66d2b, v12
	v_xor3_b32 v4, v22, v7, v3
	v_add_co_u32 v28, null, 0x78dde6e4, v12
	v_add_co_u32 v29, null, 0xed9eba14, v10
	v_xor3_b32 v7, v23, v9, v5
	s_delay_alu instid0(VALU_DEP_4) | instskip(SKIP_1) | instid1(VALU_DEP_3)
	v_mad_u64_u32 v[2:3], null, 0xcd9e8d57, v4, 0
	v_add_co_u32 v30, null, 0xa9066899, v10
	v_mad_u64_u32 v[4:5], null, 0xd2511f53, v7, 0
	v_add_co_u32 v31, null, 0x1715609d, v12
	s_delay_alu instid0(VALU_DEP_4) | instskip(SKIP_4) | instid1(VALU_DEP_4)
	v_xor3_b32 v3, v24, v3, v8
	s_clause 0x1
	s_load_b256 s[4:11], s[0:1], 0x28
	s_load_b64 s[0:1], s[0:1], 0x48
	v_add_co_u32 v32, null, 0xb54cda56, v12
	v_xor3_b32 v9, v25, v5, v6
	v_mad_u64_u32 v[5:6], null, 0xd2511f53, v3, 0
	v_add_co_u32 v33, null, 0x646e171e, v10
	s_delay_alu instid0(VALU_DEP_3) | instskip(SKIP_1) | instid1(VALU_DEP_4)
	v_mad_u64_u32 v[7:8], null, 0xcd9e8d57, v9, 0
	v_add_co_u32 v34, null, 0x1fd5c5a3, v10
	v_xor3_b32 v4, v26, v6, v4
	v_add_co_u32 v35, null, 0x5384540f, v12
	v_add_co_u32 v36, null, 0xf1bbcdc8, v12
	v_xor3_b32 v6, v27, v8, v2
	s_delay_alu instid0(VALU_DEP_4)
	v_mad_u64_u32 v[2:3], null, 0xcd9e8d57, v4, 0
	s_waitcnt lgkmcnt(0)
	v_add_f64 v[14:15], s[0:1], -s[10:11]
	v_add_co_u32 v37, null, 0xdb3d7428, v10
	v_mad_u64_u32 v[8:9], null, 0xd2511f53, v6, 0
	v_add_nc_u32_e32 v38, 0x8ff34781, v12
	v_xor3_b32 v6, v28, v3, v7
	v_dual_mov_b32 v41, 0x3c00 :: v_dual_and_b32 v40, 3, v1
	s_add_i32 s1, s15, s16
	s_mov_b32 s0, 0
	s_delay_alu instid0(VALU_DEP_4) | instskip(SKIP_2) | instid1(VALU_DEP_2)
	v_xor3_b32 v7, v29, v9, v5
	v_mad_u64_u32 v[3:4], null, 0xd2511f53, v6, 0
	s_mul_i32 s1, s1, s14
	v_mad_u64_u32 v[5:6], null, 0xcd9e8d57, v7, 0
	s_delay_alu instid0(VALU_DEP_2) | instskip(NEXT) | instid1(VALU_DEP_2)
	v_xor3_b32 v4, v30, v4, v8
	v_xor3_b32 v2, v31, v6, v2
	s_delay_alu instid0(VALU_DEP_2) | instskip(NEXT) | instid1(VALU_DEP_2)
	v_mad_u64_u32 v[6:7], null, 0xcd9e8d57, v4, 0
	v_mad_u64_u32 v[8:9], null, 0xd2511f53, v2, 0
	s_delay_alu instid0(VALU_DEP_2) | instskip(NEXT) | instid1(VALU_DEP_2)
	v_xor3_b32 v4, v32, v7, v5
	v_xor3_b32 v7, v33, v9, v3
	s_delay_alu instid0(VALU_DEP_2) | instskip(NEXT) | instid1(VALU_DEP_2)
	v_mad_u64_u32 v[2:3], null, 0xd2511f53, v4, 0
	;; [unrolled: 6-line block ×4, first 2 shown]
	v_mad_u64_u32 v[2:3], null, 0xcd9e8d57, v4, 0
	s_delay_alu instid0(VALU_DEP_2) | instskip(NEXT) | instid1(VALU_DEP_2)
	v_mov_b32_e32 v4, v8
	v_xor3_b32 v1, v3, v5, v38
	s_delay_alu instid0(VALU_DEP_4)
	v_xor3_b32 v3, v9, v7, v39
	s_branch .LBB4_5
.LBB4_4:                                ;   in Loop: Header=BB4_5 Depth=1
	s_or_b32 exec_lo, exec_lo, s14
	v_mov_b32_e32 v8, v16
	v_add_nc_u32_e32 v0, s2, v0
	s_waitcnt_vscnt null, 0x0
	s_barrier
	buffer_gl0_inv
	v_add_nc_u32_e32 v1, s12, v0
	s_delay_alu instid0(VALU_DEP_1) | instskip(SKIP_3) | instid1(SALU_CYCLE_1)
	v_cmp_le_i32_e32 vcc_lo, s13, v1
	v_dual_mov_b32 v1, v5 :: v_dual_mov_b32 v2, v6
	v_dual_mov_b32 v3, v7 :: v_dual_mov_b32 v4, v8
	s_or_b32 s0, vcc_lo, s0
	s_and_not1_b32 exec_lo, exec_lo, s0
	s_cbranch_execz .LBB4_25
.LBB4_5:                                ; =>This Inner Loop Header: Depth=1
	v_add_co_u32 v19, vcc_lo, v19, 1
	s_delay_alu instid0(VALU_DEP_1) | instskip(SKIP_2) | instid1(VALU_DEP_1)
	v_cndmask_b32_e64 v5, 0, 1, vcc_lo
	v_add_co_ci_u32_e32 v20, vcc_lo, 0, v20, vcc_lo
	s_mov_b32 s14, exec_lo
	v_cmp_eq_u32_e32 vcc_lo, 0, v20
	s_delay_alu instid0(VALU_DEP_3) | instskip(NEXT) | instid1(VALU_DEP_1)
	v_cndmask_b32_e32 v5, 0, v5, vcc_lo
	v_add_nc_u32_e32 v18, v5, v18
	s_delay_alu instid0(VALU_DEP_1) | instskip(SKIP_2) | instid1(VALU_DEP_2)
	v_cmp_eq_u32_e32 vcc_lo, 0, v18
	v_cndmask_b32_e32 v5, 0, v5, vcc_lo
	v_mad_u64_u32 v[7:8], null, 0xcd9e8d57, v18, 0
	v_add_nc_u32_e32 v21, v5, v21
	v_mad_u64_u32 v[5:6], null, 0xd2511f53, v19, 0
	s_delay_alu instid0(VALU_DEP_3) | instskip(NEXT) | instid1(VALU_DEP_2)
	v_xor3_b32 v10, v8, v12, v20
	v_xor_b32_e32 v6, v6, v13
	s_delay_alu instid0(VALU_DEP_2) | instskip(NEXT) | instid1(VALU_DEP_2)
	v_mad_u64_u32 v[8:9], null, 0xd2511f53, v10, 0
	v_xor_b32_e32 v6, v21, v6
	s_delay_alu instid0(VALU_DEP_2) | instskip(NEXT) | instid1(VALU_DEP_2)
	v_xor3_b32 v9, v22, v9, v5
	v_mad_u64_u32 v[10:11], null, 0xcd9e8d57, v6, 0
	s_delay_alu instid0(VALU_DEP_2) | instskip(NEXT) | instid1(VALU_DEP_2)
	v_mad_u64_u32 v[5:6], null, 0xcd9e8d57, v9, 0
	v_xor3_b32 v7, v23, v11, v7
	s_delay_alu instid0(VALU_DEP_2) | instskip(NEXT) | instid1(VALU_DEP_2)
	v_xor3_b32 v9, v24, v6, v10
	v_mad_u64_u32 v[16:17], null, 0xd2511f53, v7, 0
	s_delay_alu instid0(VALU_DEP_2) | instskip(NEXT) | instid1(VALU_DEP_2)
	v_mad_u64_u32 v[6:7], null, 0xd2511f53, v9, 0
	v_xor3_b32 v10, v25, v17, v8
	s_delay_alu instid0(VALU_DEP_2) | instskip(NEXT) | instid1(VALU_DEP_2)
	v_xor3_b32 v7, v26, v7, v16
	v_mad_u64_u32 v[8:9], null, 0xcd9e8d57, v10, 0
	s_delay_alu instid0(VALU_DEP_1) | instskip(NEXT) | instid1(VALU_DEP_3)
	v_xor3_b32 v5, v27, v9, v5
	v_mad_u64_u32 v[9:10], null, 0xcd9e8d57, v7, 0
	s_delay_alu instid0(VALU_DEP_2) | instskip(NEXT) | instid1(VALU_DEP_2)
	v_mad_u64_u32 v[16:17], null, 0xd2511f53, v5, 0
	v_xor3_b32 v7, v28, v10, v8
	s_delay_alu instid0(VALU_DEP_2) | instskip(NEXT) | instid1(VALU_DEP_2)
	v_xor3_b32 v10, v29, v17, v6
	v_mad_u64_u32 v[5:6], null, 0xd2511f53, v7, 0
	s_delay_alu instid0(VALU_DEP_2) | instskip(NEXT) | instid1(VALU_DEP_2)
	v_mad_u64_u32 v[7:8], null, 0xcd9e8d57, v10, 0
	v_xor3_b32 v6, v30, v6, v16
	s_delay_alu instid0(VALU_DEP_2) | instskip(NEXT) | instid1(VALU_DEP_2)
	;; [unrolled: 6-line block ×6, first 2 shown]
	v_xor3_b32 v5, v7, v8, v38
	v_mov_b32_e32 v7, v11
	v_cmpx_lt_i32_e32 1, v40
	s_xor_b32 s14, exec_lo, s14
	s_cbranch_execz .LBB4_11
; %bb.6:                                ;   in Loop: Header=BB4_5 Depth=1
	s_mov_b32 s15, exec_lo
	v_cmpx_lt_i32_e32 2, v40
	s_xor_b32 s15, exec_lo, s15
; %bb.7:                                ;   in Loop: Header=BB4_5 Depth=1
	v_dual_mov_b32 v8, v4 :: v_dual_mov_b32 v9, v5
	v_mov_b32_e32 v10, v6
	s_delay_alu instid0(VALU_DEP_2) | instskip(NEXT) | instid1(VALU_DEP_2)
	v_dual_mov_b32 v1, v8 :: v_dual_mov_b32 v2, v9
	v_dual_mov_b32 v3, v10 :: v_dual_mov_b32 v4, v11
; %bb.8:                                ;   in Loop: Header=BB4_5 Depth=1
	s_and_not1_saveexec_b32 s15, s15
; %bb.9:                                ;   in Loop: Header=BB4_5 Depth=1
	s_delay_alu instid0(VALU_DEP_1)
	v_dual_mov_b32 v1, v3 :: v_dual_mov_b32 v2, v4
	v_dual_mov_b32 v3, v5 :: v_dual_mov_b32 v4, v6
; %bb.10:                               ;   in Loop: Header=BB4_5 Depth=1
	s_or_b32 exec_lo, exec_lo, s15
.LBB4_11:                               ;   in Loop: Header=BB4_5 Depth=1
	s_and_not1_saveexec_b32 s14, s14
	s_cbranch_execz .LBB4_15
; %bb.12:                               ;   in Loop: Header=BB4_5 Depth=1
	s_mov_b32 s15, exec_lo
	v_cmpx_eq_u32_e32 1, v40
; %bb.13:                               ;   in Loop: Header=BB4_5 Depth=1
	v_dual_mov_b32 v1, v2 :: v_dual_mov_b32 v2, v3
	v_dual_mov_b32 v3, v4 :: v_dual_mov_b32 v4, v5
; %bb.14:                               ;   in Loop: Header=BB4_5 Depth=1
	s_or_b32 exec_lo, exec_lo, s15
.LBB4_15:                               ;   in Loop: Header=BB4_5 Depth=1
	s_delay_alu instid0(SALU_CYCLE_1) | instskip(SKIP_2) | instid1(VALU_DEP_1)
	s_or_b32 exec_lo, exec_lo, s14
	v_add_nc_u32_e32 v8, s12, v0
	s_mov_b32 s14, exec_lo
	v_cmpx_gt_i32_e64 s3, v8
	s_cbranch_execz .LBB4_20
; %bb.16:                               ;   in Loop: Header=BB4_5 Depth=1
	v_ashrrev_i32_e32 v9, 31, v8
	s_mov_b32 s15, exec_lo
	s_delay_alu instid0(VALU_DEP_1) | instskip(NEXT) | instid1(VALU_DEP_1)
	v_lshlrev_b64 v[8:9], 1, v[8:9]
	v_add_co_u32 v10, vcc_lo, s6, v8
	s_delay_alu instid0(VALU_DEP_2)
	v_add_co_ci_u32_e32 v11, vcc_lo, s7, v9, vcc_lo
	global_load_u16 v10, v[10:11], off
	s_waitcnt vmcnt(0)
	v_cmpx_ge_f16_e32 0, v10
	s_xor_b32 s15, exec_lo, s15
	s_cbranch_execz .LBB4_18
; %bb.17:                               ;   in Loop: Header=BB4_5 Depth=1
	v_lshrrev_b32_e32 v2, 11, v2
	s_delay_alu instid0(VALU_DEP_1) | instskip(SKIP_1) | instid1(VALU_DEP_2)
	v_cvt_f64_u32_e32 v[42:43], v2
	v_cvt_f64_u32_e32 v[1:2], v1
	v_ldexp_f64 v[42:43], v[42:43], 32
	s_delay_alu instid0(VALU_DEP_1) | instskip(NEXT) | instid1(VALU_DEP_1)
	v_add_f64 v[1:2], v[42:43], v[1:2]
	v_fma_f64 v[1:2], 0x3ca00000, v[1:2], 0x3ca00000
	s_delay_alu instid0(VALU_DEP_1) | instskip(NEXT) | instid1(VALU_DEP_1)
	v_cvt_f32_f64_e32 v1, v[1:2]
	v_cvt_f16_f32_e32 v1, v1
	s_delay_alu instid0(VALU_DEP_1) | instskip(NEXT) | instid1(VALU_DEP_1)
	v_cvt_f32_f16_e32 v1, v1
	v_cvt_f64_f32_e32 v[1:2], v1
	s_delay_alu instid0(VALU_DEP_1) | instskip(NEXT) | instid1(VALU_DEP_1)
	v_fma_f64 v[1:2], v[14:15], v[1:2], s[10:11]
	v_cvt_f32_f64_e32 v1, v[1:2]
	s_delay_alu instid0(VALU_DEP_1) | instskip(SKIP_3) | instid1(VALU_DEP_4)
	v_cvt_f16_f32_e32 v11, v1
	v_add_co_u32 v1, vcc_lo, s4, v8
	v_add_co_ci_u32_e32 v2, vcc_lo, s5, v9, vcc_lo
	v_add_co_u32 v8, vcc_lo, s8, v8
	v_mul_f16_e32 v10, v10, v11
	v_add_co_ci_u32_e32 v9, vcc_lo, s9, v9, vcc_lo
	global_store_b16 v[1:2], v10, off
	global_store_b16 v[8:9], v11, off
                                        ; implicit-def: $vgpr8_vgpr9
                                        ; implicit-def: $vgpr10
.LBB4_18:                               ;   in Loop: Header=BB4_5 Depth=1
	s_and_not1_saveexec_b32 s15, s15
	s_cbranch_execz .LBB4_20
; %bb.19:                               ;   in Loop: Header=BB4_5 Depth=1
	v_add_co_u32 v1, vcc_lo, s4, v8
	v_add_co_ci_u32_e32 v2, vcc_lo, s5, v9, vcc_lo
	v_add_co_u32 v8, vcc_lo, s8, v8
	v_add_co_ci_u32_e32 v9, vcc_lo, s9, v9, vcc_lo
	global_store_b16 v[1:2], v10, off
	global_store_b16 v[8:9], v41, off
.LBB4_20:                               ;   in Loop: Header=BB4_5 Depth=1
	s_or_b32 exec_lo, exec_lo, s14
	v_add_nc_u32_e32 v1, s1, v0
	s_mov_b32 s14, exec_lo
	s_delay_alu instid0(VALU_DEP_1)
	v_cmpx_gt_i32_e64 s3, v1
	s_cbranch_execz .LBB4_4
; %bb.21:                               ;   in Loop: Header=BB4_5 Depth=1
	v_ashrrev_i32_e32 v2, 31, v1
	s_mov_b32 s15, exec_lo
	s_delay_alu instid0(VALU_DEP_1) | instskip(NEXT) | instid1(VALU_DEP_1)
	v_lshlrev_b64 v[1:2], 1, v[1:2]
	v_add_co_u32 v8, vcc_lo, s6, v1
	s_delay_alu instid0(VALU_DEP_2)
	v_add_co_ci_u32_e32 v9, vcc_lo, s7, v2, vcc_lo
	global_load_u16 v8, v[8:9], off
	s_waitcnt vmcnt(0)
	v_cmpx_ge_f16_e32 0, v8
	s_xor_b32 s15, exec_lo, s15
	s_cbranch_execz .LBB4_23
; %bb.22:                               ;   in Loop: Header=BB4_5 Depth=1
	v_lshrrev_b32_e32 v4, 11, v4
	s_delay_alu instid0(VALU_DEP_1) | instskip(SKIP_1) | instid1(VALU_DEP_2)
	v_cvt_f64_u32_e32 v[9:10], v4
	v_cvt_f64_u32_e32 v[3:4], v3
	v_ldexp_f64 v[9:10], v[9:10], 32
	s_delay_alu instid0(VALU_DEP_1) | instskip(NEXT) | instid1(VALU_DEP_1)
	v_add_f64 v[3:4], v[9:10], v[3:4]
	v_fma_f64 v[3:4], 0x3ca00000, v[3:4], 0x3ca00000
	s_delay_alu instid0(VALU_DEP_1) | instskip(NEXT) | instid1(VALU_DEP_1)
	v_cvt_f32_f64_e32 v3, v[3:4]
	v_cvt_f16_f32_e32 v3, v3
	s_delay_alu instid0(VALU_DEP_1) | instskip(NEXT) | instid1(VALU_DEP_1)
	v_cvt_f32_f16_e32 v3, v3
	v_cvt_f64_f32_e32 v[3:4], v3
	s_delay_alu instid0(VALU_DEP_1) | instskip(NEXT) | instid1(VALU_DEP_1)
	v_fma_f64 v[3:4], v[14:15], v[3:4], s[10:11]
	v_cvt_f32_f64_e32 v3, v[3:4]
	s_delay_alu instid0(VALU_DEP_1) | instskip(SKIP_3) | instid1(VALU_DEP_4)
	v_cvt_f16_f32_e32 v9, v3
	v_add_co_u32 v3, vcc_lo, s4, v1
	v_add_co_ci_u32_e32 v4, vcc_lo, s5, v2, vcc_lo
	v_add_co_u32 v1, vcc_lo, s8, v1
	v_mul_f16_e32 v8, v8, v9
	v_add_co_ci_u32_e32 v2, vcc_lo, s9, v2, vcc_lo
	global_store_b16 v[3:4], v8, off
	global_store_b16 v[1:2], v9, off
                                        ; implicit-def: $vgpr1_vgpr2
                                        ; implicit-def: $vgpr8
.LBB4_23:                               ;   in Loop: Header=BB4_5 Depth=1
	s_and_not1_saveexec_b32 s15, s15
	s_cbranch_execz .LBB4_4
; %bb.24:                               ;   in Loop: Header=BB4_5 Depth=1
	v_add_co_u32 v3, vcc_lo, s4, v1
	v_add_co_ci_u32_e32 v4, vcc_lo, s5, v2, vcc_lo
	v_add_co_u32 v1, vcc_lo, s8, v1
	v_add_co_ci_u32_e32 v2, vcc_lo, s9, v2, vcc_lo
	global_store_b16 v[3:4], v8, off
	global_store_b16 v[1:2], v41, off
	s_branch .LBB4_4
.LBB4_25:
	s_endpgm
	.section	.rodata,"a",@progbits
	.p2align	6, 0x0
	.amdhsa_kernel _ZN2at6native28rrelu_with_noise_cuda_kernelIN3c104HalfELi2EZNS0_28_rrelu_with_noise_cuda_trainIS3_EEvRNS_6TensorERKS5_S6_RKNS2_6ScalarESB_St8optionalINS_9GeneratorEEEUlP25hiprandStatePhilox4_32_10E_EEviNS_15PhiloxCudaStateEPT_PKSJ_SK_ddRKT1_
		.amdhsa_group_segment_fixed_size 0
		.amdhsa_private_segment_fixed_size 0
		.amdhsa_kernarg_size 344
		.amdhsa_user_sgpr_count 15
		.amdhsa_user_sgpr_dispatch_ptr 0
		.amdhsa_user_sgpr_queue_ptr 0
		.amdhsa_user_sgpr_kernarg_segment_ptr 1
		.amdhsa_user_sgpr_dispatch_id 0
		.amdhsa_user_sgpr_private_segment_size 0
		.amdhsa_wavefront_size32 1
		.amdhsa_uses_dynamic_stack 0
		.amdhsa_enable_private_segment 0
		.amdhsa_system_sgpr_workgroup_id_x 1
		.amdhsa_system_sgpr_workgroup_id_y 0
		.amdhsa_system_sgpr_workgroup_id_z 0
		.amdhsa_system_sgpr_workgroup_info 0
		.amdhsa_system_vgpr_workitem_id 0
		.amdhsa_next_free_vgpr 44
		.amdhsa_next_free_sgpr 17
		.amdhsa_reserve_vcc 1
		.amdhsa_float_round_mode_32 0
		.amdhsa_float_round_mode_16_64 0
		.amdhsa_float_denorm_mode_32 3
		.amdhsa_float_denorm_mode_16_64 3
		.amdhsa_dx10_clamp 1
		.amdhsa_ieee_mode 1
		.amdhsa_fp16_overflow 0
		.amdhsa_workgroup_processor_mode 1
		.amdhsa_memory_ordered 1
		.amdhsa_forward_progress 0
		.amdhsa_shared_vgpr_count 0
		.amdhsa_exception_fp_ieee_invalid_op 0
		.amdhsa_exception_fp_denorm_src 0
		.amdhsa_exception_fp_ieee_div_zero 0
		.amdhsa_exception_fp_ieee_overflow 0
		.amdhsa_exception_fp_ieee_underflow 0
		.amdhsa_exception_fp_ieee_inexact 0
		.amdhsa_exception_int_div_zero 0
	.end_amdhsa_kernel
	.section	.text._ZN2at6native28rrelu_with_noise_cuda_kernelIN3c104HalfELi2EZNS0_28_rrelu_with_noise_cuda_trainIS3_EEvRNS_6TensorERKS5_S6_RKNS2_6ScalarESB_St8optionalINS_9GeneratorEEEUlP25hiprandStatePhilox4_32_10E_EEviNS_15PhiloxCudaStateEPT_PKSJ_SK_ddRKT1_,"axG",@progbits,_ZN2at6native28rrelu_with_noise_cuda_kernelIN3c104HalfELi2EZNS0_28_rrelu_with_noise_cuda_trainIS3_EEvRNS_6TensorERKS5_S6_RKNS2_6ScalarESB_St8optionalINS_9GeneratorEEEUlP25hiprandStatePhilox4_32_10E_EEviNS_15PhiloxCudaStateEPT_PKSJ_SK_ddRKT1_,comdat
.Lfunc_end4:
	.size	_ZN2at6native28rrelu_with_noise_cuda_kernelIN3c104HalfELi2EZNS0_28_rrelu_with_noise_cuda_trainIS3_EEvRNS_6TensorERKS5_S6_RKNS2_6ScalarESB_St8optionalINS_9GeneratorEEEUlP25hiprandStatePhilox4_32_10E_EEviNS_15PhiloxCudaStateEPT_PKSJ_SK_ddRKT1_, .Lfunc_end4-_ZN2at6native28rrelu_with_noise_cuda_kernelIN3c104HalfELi2EZNS0_28_rrelu_with_noise_cuda_trainIS3_EEvRNS_6TensorERKS5_S6_RKNS2_6ScalarESB_St8optionalINS_9GeneratorEEEUlP25hiprandStatePhilox4_32_10E_EEviNS_15PhiloxCudaStateEPT_PKSJ_SK_ddRKT1_
                                        ; -- End function
	.section	.AMDGPU.csdata,"",@progbits
; Kernel info:
; codeLenInByte = 2384
; NumSgprs: 19
; NumVgprs: 44
; ScratchSize: 0
; MemoryBound: 0
; FloatMode: 240
; IeeeMode: 1
; LDSByteSize: 0 bytes/workgroup (compile time only)
; SGPRBlocks: 2
; VGPRBlocks: 5
; NumSGPRsForWavesPerEU: 19
; NumVGPRsForWavesPerEU: 44
; Occupancy: 16
; WaveLimiterHint : 0
; COMPUTE_PGM_RSRC2:SCRATCH_EN: 0
; COMPUTE_PGM_RSRC2:USER_SGPR: 15
; COMPUTE_PGM_RSRC2:TRAP_HANDLER: 0
; COMPUTE_PGM_RSRC2:TGID_X_EN: 1
; COMPUTE_PGM_RSRC2:TGID_Y_EN: 0
; COMPUTE_PGM_RSRC2:TGID_Z_EN: 0
; COMPUTE_PGM_RSRC2:TIDIG_COMP_CNT: 0
	.section	.text._ZN2at6native28rrelu_with_noise_cuda_kernelIN3c104HalfELi4EZNS0_28_rrelu_with_noise_cuda_trainIS3_EEvRNS_6TensorERKS5_S6_RKNS2_6ScalarESB_St8optionalINS_9GeneratorEEEUlP25hiprandStatePhilox4_32_10E0_EEviNS_15PhiloxCudaStateEPT_PKSJ_SK_ddRKT1_,"axG",@progbits,_ZN2at6native28rrelu_with_noise_cuda_kernelIN3c104HalfELi4EZNS0_28_rrelu_with_noise_cuda_trainIS3_EEvRNS_6TensorERKS5_S6_RKNS2_6ScalarESB_St8optionalINS_9GeneratorEEEUlP25hiprandStatePhilox4_32_10E0_EEviNS_15PhiloxCudaStateEPT_PKSJ_SK_ddRKT1_,comdat
	.protected	_ZN2at6native28rrelu_with_noise_cuda_kernelIN3c104HalfELi4EZNS0_28_rrelu_with_noise_cuda_trainIS3_EEvRNS_6TensorERKS5_S6_RKNS2_6ScalarESB_St8optionalINS_9GeneratorEEEUlP25hiprandStatePhilox4_32_10E0_EEviNS_15PhiloxCudaStateEPT_PKSJ_SK_ddRKT1_ ; -- Begin function _ZN2at6native28rrelu_with_noise_cuda_kernelIN3c104HalfELi4EZNS0_28_rrelu_with_noise_cuda_trainIS3_EEvRNS_6TensorERKS5_S6_RKNS2_6ScalarESB_St8optionalINS_9GeneratorEEEUlP25hiprandStatePhilox4_32_10E0_EEviNS_15PhiloxCudaStateEPT_PKSJ_SK_ddRKT1_
	.globl	_ZN2at6native28rrelu_with_noise_cuda_kernelIN3c104HalfELi4EZNS0_28_rrelu_with_noise_cuda_trainIS3_EEvRNS_6TensorERKS5_S6_RKNS2_6ScalarESB_St8optionalINS_9GeneratorEEEUlP25hiprandStatePhilox4_32_10E0_EEviNS_15PhiloxCudaStateEPT_PKSJ_SK_ddRKT1_
	.p2align	8
	.type	_ZN2at6native28rrelu_with_noise_cuda_kernelIN3c104HalfELi4EZNS0_28_rrelu_with_noise_cuda_trainIS3_EEvRNS_6TensorERKS5_S6_RKNS2_6ScalarESB_St8optionalINS_9GeneratorEEEUlP25hiprandStatePhilox4_32_10E0_EEviNS_15PhiloxCudaStateEPT_PKSJ_SK_ddRKT1_,@function
_ZN2at6native28rrelu_with_noise_cuda_kernelIN3c104HalfELi4EZNS0_28_rrelu_with_noise_cuda_trainIS3_EEvRNS_6TensorERKS5_S6_RKNS2_6ScalarESB_St8optionalINS_9GeneratorEEEUlP25hiprandStatePhilox4_32_10E0_EEviNS_15PhiloxCudaStateEPT_PKSJ_SK_ddRKT1_: ; @_ZN2at6native28rrelu_with_noise_cuda_kernelIN3c104HalfELi4EZNS0_28_rrelu_with_noise_cuda_trainIS3_EEvRNS_6TensorERKS5_S6_RKNS2_6ScalarESB_St8optionalINS_9GeneratorEEEUlP25hiprandStatePhilox4_32_10E0_EEviNS_15PhiloxCudaStateEPT_PKSJ_SK_ddRKT1_
; %bb.0:
	s_clause 0x1
	s_load_b128 s[4:7], s[0:1], 0x8
	s_load_b32 s2, s[0:1], 0x20
	s_waitcnt lgkmcnt(0)
	v_dual_mov_b32 v1, s6 :: v_dual_mov_b32 v2, s7
	v_dual_mov_b32 v13, s5 :: v_dual_mov_b32 v12, s4
	s_bitcmp0_b32 s2, 0
	s_cbranch_scc1 .LBB5_2
; %bb.1:
	v_dual_mov_b32 v1, s6 :: v_dual_mov_b32 v2, s7
	v_dual_mov_b32 v3, s4 :: v_dual_mov_b32 v4, s5
	s_load_b64 s[2:3], s[0:1], 0x18
	flat_load_b64 v[1:2], v[1:2]
	flat_load_b64 v[12:13], v[3:4]
	s_waitcnt vmcnt(1) lgkmcnt(0)
	v_add_co_u32 v1, vcc_lo, v1, s2
	v_add_co_ci_u32_e32 v2, vcc_lo, s3, v2, vcc_lo
.LBB5_2:
	s_clause 0x2
	s_load_b32 s2, s[0:1], 0x64
	s_load_b32 s14, s[0:1], 0x58
	;; [unrolled: 1-line block ×3, first 2 shown]
	s_waitcnt lgkmcnt(0)
	s_and_b32 s16, s2, 0xffff
	s_add_i32 s7, s3, -1
	s_mul_i32 s2, s14, s16
	s_mul_i32 s12, s15, s16
	s_lshl_b32 s2, s2, 2
	s_abs_i32 s8, s7
	s_abs_i32 s4, s2
	v_add_nc_u32_e32 v18, s12, v0
	v_cvt_f32_u32_e32 v3, s4
	s_sub_i32 s6, 0, s4
	s_delay_alu instid0(VALU_DEP_1) | instskip(SKIP_2) | instid1(VALU_DEP_1)
	v_rcp_iflag_f32_e32 v3, v3
	s_waitcnt_depctr 0xfff
	v_mul_f32_e32 v3, 0x4f7ffffe, v3
	v_cvt_u32_f32_e32 v3, v3
	s_delay_alu instid0(VALU_DEP_1) | instskip(NEXT) | instid1(VALU_DEP_1)
	v_readfirstlane_b32 s5, v3
	s_mul_i32 s6, s6, s5
	s_delay_alu instid0(SALU_CYCLE_1) | instskip(NEXT) | instid1(SALU_CYCLE_1)
	s_mul_hi_u32 s6, s5, s6
	s_add_i32 s5, s5, s6
	s_xor_b32 s6, s7, s2
	s_mul_hi_u32 s5, s8, s5
	s_ashr_i32 s6, s6, 31
	s_mul_i32 s7, s5, s4
	s_delay_alu instid0(SALU_CYCLE_1)
	s_sub_i32 s7, s8, s7
	s_add_i32 s8, s5, 1
	s_sub_i32 s9, s7, s4
	s_cmp_ge_u32 s7, s4
	s_cselect_b32 s5, s8, s5
	s_cselect_b32 s7, s9, s7
	s_add_i32 s8, s5, 1
	s_cmp_ge_u32 s7, s4
	s_cselect_b32 s4, s8, s5
	s_delay_alu instid0(SALU_CYCLE_1) | instskip(NEXT) | instid1(SALU_CYCLE_1)
	s_xor_b32 s4, s4, s6
	s_sub_i32 s4, s4, s6
	s_delay_alu instid0(SALU_CYCLE_1) | instskip(NEXT) | instid1(SALU_CYCLE_1)
	s_add_i32 s4, s4, 1
	s_mul_i32 s13, s2, s4
	s_mov_b32 s4, exec_lo
	v_cmpx_gt_i32_e64 s13, v18
	s_cbranch_execz .LBB5_35
; %bb.3:
	v_alignbit_b32 v19, v2, v1, 2
	v_mad_u64_u32 v[5:6], null, 0xcd9e8d57, v18, 0
	v_lshrrev_b32_e32 v20, 2, v2
	v_ashrrev_i32_e32 v21, 31, v18
	s_delay_alu instid0(VALU_DEP_4) | instskip(SKIP_4) | instid1(VALU_DEP_4)
	v_mad_u64_u32 v[3:4], null, 0xd2511f53, v19, 0
	s_waitcnt vmcnt(0)
	v_dual_mov_b32 v10, v13 :: v_dual_add_nc_u32 v39, 0x8ff34781, v12
	v_add_co_u32 v23, null, 0x9e3779b9, v12
	v_add_co_u32 v24, null, 0x3c6ef372, v12
	v_xor_b32_e32 v2, v4, v13
	v_xor3_b32 v4, v12, v6, v20
	v_add_co_u32 v22, null, 0xbb67ae85, v10
	v_add_co_u32 v25, null, 0x76cf5d0a, v10
	s_delay_alu instid0(VALU_DEP_4) | instskip(NEXT) | instid1(VALU_DEP_4)
	v_xor_b32_e32 v2, v2, v21
	v_mad_u64_u32 v[6:7], null, 0xd2511f53, v4, 0
	v_add_co_u32 v26, null, 0x32370b8f, v10
	s_delay_alu instid0(VALU_DEP_3) | instskip(SKIP_1) | instid1(VALU_DEP_4)
	v_mad_u64_u32 v[8:9], null, 0xcd9e8d57, v2, 0
	v_add_co_u32 v27, null, 0xdaa66d2b, v12
	v_xor3_b32 v4, v22, v7, v3
	v_add_co_u32 v28, null, 0x78dde6e4, v12
	v_add_co_u32 v29, null, 0xed9eba14, v10
	v_xor3_b32 v7, v23, v9, v5
	s_delay_alu instid0(VALU_DEP_4) | instskip(SKIP_1) | instid1(VALU_DEP_3)
	v_mad_u64_u32 v[2:3], null, 0xcd9e8d57, v4, 0
	v_add_co_u32 v30, null, 0xa9066899, v10
	v_mad_u64_u32 v[4:5], null, 0xd2511f53, v7, 0
	v_add_co_u32 v31, null, 0x1715609d, v12
	s_delay_alu instid0(VALU_DEP_4) | instskip(SKIP_4) | instid1(VALU_DEP_4)
	v_xor3_b32 v3, v24, v3, v8
	s_clause 0x1
	s_load_b256 s[4:11], s[0:1], 0x28
	s_load_b64 s[0:1], s[0:1], 0x48
	v_add_co_u32 v32, null, 0xb54cda56, v12
	v_xor3_b32 v9, v25, v5, v6
	v_mad_u64_u32 v[5:6], null, 0xd2511f53, v3, 0
	v_add_co_u32 v33, null, 0x646e171e, v10
	s_delay_alu instid0(VALU_DEP_3) | instskip(SKIP_1) | instid1(VALU_DEP_4)
	v_mad_u64_u32 v[7:8], null, 0xcd9e8d57, v9, 0
	v_add_co_u32 v34, null, 0x1fd5c5a3, v10
	v_xor3_b32 v4, v26, v6, v4
	v_add_co_u32 v35, null, 0x5384540f, v12
	v_add_co_u32 v36, null, 0xf1bbcdc8, v12
	v_xor3_b32 v6, v27, v8, v2
	s_delay_alu instid0(VALU_DEP_4)
	v_mad_u64_u32 v[2:3], null, 0xcd9e8d57, v4, 0
	s_waitcnt lgkmcnt(0)
	v_add_f64 v[14:15], s[0:1], -s[10:11]
	v_add_co_u32 v37, null, 0xdb3d7428, v10
	v_mad_u64_u32 v[8:9], null, 0xd2511f53, v6, 0
	v_dual_mov_b32 v41, 0x3c00 :: v_dual_and_b32 v38, 3, v1
	v_xor3_b32 v6, v28, v3, v7
	v_add_nc_u32_e32 v40, 0x96a522ad, v13
	s_lshl_b32 s1, s14, 1
	s_mul_i32 s17, s14, 3
	s_delay_alu instid0(VALU_DEP_4) | instskip(SKIP_3) | instid1(VALU_DEP_2)
	v_xor3_b32 v7, v29, v9, v5
	v_mad_u64_u32 v[3:4], null, 0xd2511f53, v6, 0
	s_add_i32 s18, s15, s14
	s_add_i32 s1, s15, s1
	v_mad_u64_u32 v[5:6], null, 0xcd9e8d57, v7, 0
	s_add_i32 s14, s15, s17
	s_mov_b32 s0, 0
	s_delay_alu instid0(VALU_DEP_2) | instskip(SKIP_3) | instid1(VALU_DEP_2)
	v_xor3_b32 v4, v30, v4, v8
	s_mul_i32 s1, s1, s16
	s_mul_i32 s14, s14, s16
	;; [unrolled: 1-line block ×3, first 2 shown]
	v_xor3_b32 v2, v31, v6, v2
	v_mad_u64_u32 v[6:7], null, 0xcd9e8d57, v4, 0
	s_mov_b32 s16, 0x2f800000
	s_delay_alu instid0(VALU_DEP_2) | instskip(NEXT) | instid1(VALU_DEP_2)
	v_mad_u64_u32 v[8:9], null, 0xd2511f53, v2, 0
	v_xor3_b32 v4, v32, v7, v5
	s_delay_alu instid0(VALU_DEP_2) | instskip(NEXT) | instid1(VALU_DEP_2)
	v_xor3_b32 v7, v33, v9, v3
	v_mad_u64_u32 v[2:3], null, 0xd2511f53, v4, 0
	s_delay_alu instid0(VALU_DEP_2) | instskip(NEXT) | instid1(VALU_DEP_2)
	v_mad_u64_u32 v[4:5], null, 0xcd9e8d57, v7, 0
	v_xor3_b32 v3, v34, v3, v8
	s_delay_alu instid0(VALU_DEP_2) | instskip(NEXT) | instid1(VALU_DEP_2)
	v_xor3_b32 v9, v35, v5, v6
	v_mad_u64_u32 v[5:6], null, 0xcd9e8d57, v3, 0
	;; [unrolled: 6-line block ×3, first 2 shown]
	s_delay_alu instid0(VALU_DEP_2) | instskip(NEXT) | instid1(VALU_DEP_2)
	v_mad_u64_u32 v[2:3], null, 0xcd9e8d57, v4, 0
	v_mov_b32_e32 v4, v8
	s_delay_alu instid0(VALU_DEP_2) | instskip(NEXT) | instid1(VALU_DEP_4)
	v_xor3_b32 v1, v3, v5, v39
	v_xor3_b32 v3, v9, v7, v40
	s_branch .LBB5_5
.LBB5_4:                                ;   in Loop: Header=BB5_5 Depth=1
	s_or_b32 exec_lo, exec_lo, s17
	v_mov_b32_e32 v8, v16
	v_add_nc_u32_e32 v0, s2, v0
	s_waitcnt_vscnt null, 0x0
	s_barrier
	buffer_gl0_inv
	v_add_nc_u32_e32 v1, s12, v0
	s_delay_alu instid0(VALU_DEP_1) | instskip(SKIP_3) | instid1(SALU_CYCLE_1)
	v_cmp_le_i32_e32 vcc_lo, s13, v1
	v_dual_mov_b32 v1, v5 :: v_dual_mov_b32 v2, v6
	v_dual_mov_b32 v3, v7 :: v_dual_mov_b32 v4, v8
	s_or_b32 s0, vcc_lo, s0
	s_and_not1_b32 exec_lo, exec_lo, s0
	s_cbranch_execz .LBB5_35
.LBB5_5:                                ; =>This Inner Loop Header: Depth=1
	v_add_co_u32 v19, vcc_lo, v19, 1
	s_delay_alu instid0(VALU_DEP_1) | instskip(SKIP_2) | instid1(VALU_DEP_1)
	v_cndmask_b32_e64 v5, 0, 1, vcc_lo
	v_add_co_ci_u32_e32 v20, vcc_lo, 0, v20, vcc_lo
	s_mov_b32 s17, exec_lo
	v_cmp_eq_u32_e32 vcc_lo, 0, v20
	s_delay_alu instid0(VALU_DEP_3) | instskip(NEXT) | instid1(VALU_DEP_1)
	v_cndmask_b32_e32 v5, 0, v5, vcc_lo
	v_add_nc_u32_e32 v18, v5, v18
	s_delay_alu instid0(VALU_DEP_1) | instskip(SKIP_2) | instid1(VALU_DEP_2)
	v_cmp_eq_u32_e32 vcc_lo, 0, v18
	v_cndmask_b32_e32 v5, 0, v5, vcc_lo
	v_mad_u64_u32 v[7:8], null, 0xcd9e8d57, v18, 0
	v_add_nc_u32_e32 v21, v5, v21
	v_mad_u64_u32 v[5:6], null, 0xd2511f53, v19, 0
	s_delay_alu instid0(VALU_DEP_3) | instskip(NEXT) | instid1(VALU_DEP_2)
	v_xor3_b32 v10, v8, v12, v20
	v_xor_b32_e32 v6, v6, v13
	s_delay_alu instid0(VALU_DEP_2) | instskip(NEXT) | instid1(VALU_DEP_2)
	v_mad_u64_u32 v[8:9], null, 0xd2511f53, v10, 0
	v_xor_b32_e32 v6, v21, v6
	s_delay_alu instid0(VALU_DEP_2) | instskip(NEXT) | instid1(VALU_DEP_2)
	v_xor3_b32 v9, v22, v9, v5
	v_mad_u64_u32 v[10:11], null, 0xcd9e8d57, v6, 0
	s_delay_alu instid0(VALU_DEP_2) | instskip(NEXT) | instid1(VALU_DEP_2)
	v_mad_u64_u32 v[5:6], null, 0xcd9e8d57, v9, 0
	v_xor3_b32 v7, v23, v11, v7
	s_delay_alu instid0(VALU_DEP_2) | instskip(NEXT) | instid1(VALU_DEP_2)
	v_xor3_b32 v9, v24, v6, v10
	v_mad_u64_u32 v[16:17], null, 0xd2511f53, v7, 0
	s_delay_alu instid0(VALU_DEP_2) | instskip(NEXT) | instid1(VALU_DEP_2)
	v_mad_u64_u32 v[6:7], null, 0xd2511f53, v9, 0
	v_xor3_b32 v10, v25, v17, v8
	s_delay_alu instid0(VALU_DEP_2) | instskip(NEXT) | instid1(VALU_DEP_2)
	v_xor3_b32 v7, v26, v7, v16
	v_mad_u64_u32 v[8:9], null, 0xcd9e8d57, v10, 0
	s_delay_alu instid0(VALU_DEP_1) | instskip(NEXT) | instid1(VALU_DEP_3)
	v_xor3_b32 v5, v27, v9, v5
	v_mad_u64_u32 v[9:10], null, 0xcd9e8d57, v7, 0
	s_delay_alu instid0(VALU_DEP_2) | instskip(NEXT) | instid1(VALU_DEP_2)
	v_mad_u64_u32 v[16:17], null, 0xd2511f53, v5, 0
	v_xor3_b32 v7, v28, v10, v8
	s_delay_alu instid0(VALU_DEP_2) | instskip(NEXT) | instid1(VALU_DEP_2)
	v_xor3_b32 v10, v29, v17, v6
	v_mad_u64_u32 v[5:6], null, 0xd2511f53, v7, 0
	s_delay_alu instid0(VALU_DEP_2) | instskip(NEXT) | instid1(VALU_DEP_2)
	v_mad_u64_u32 v[7:8], null, 0xcd9e8d57, v10, 0
	v_xor3_b32 v6, v30, v6, v16
	s_delay_alu instid0(VALU_DEP_2) | instskip(NEXT) | instid1(VALU_DEP_2)
	;; [unrolled: 6-line block ×6, first 2 shown]
	v_xor3_b32 v5, v7, v8, v39
	v_mov_b32_e32 v7, v11
	v_cmpx_lt_i32_e32 1, v38
	s_xor_b32 s17, exec_lo, s17
	s_cbranch_execz .LBB5_11
; %bb.6:                                ;   in Loop: Header=BB5_5 Depth=1
	s_mov_b32 s18, exec_lo
	v_cmpx_lt_i32_e32 2, v38
	s_xor_b32 s18, exec_lo, s18
; %bb.7:                                ;   in Loop: Header=BB5_5 Depth=1
	v_dual_mov_b32 v8, v4 :: v_dual_mov_b32 v9, v5
	v_mov_b32_e32 v10, v6
	s_delay_alu instid0(VALU_DEP_2) | instskip(NEXT) | instid1(VALU_DEP_2)
	v_dual_mov_b32 v1, v8 :: v_dual_mov_b32 v2, v9
	v_dual_mov_b32 v3, v10 :: v_dual_mov_b32 v4, v11
; %bb.8:                                ;   in Loop: Header=BB5_5 Depth=1
	s_and_not1_saveexec_b32 s18, s18
; %bb.9:                                ;   in Loop: Header=BB5_5 Depth=1
	s_delay_alu instid0(VALU_DEP_1)
	v_dual_mov_b32 v1, v3 :: v_dual_mov_b32 v2, v4
	v_dual_mov_b32 v3, v5 :: v_dual_mov_b32 v4, v6
; %bb.10:                               ;   in Loop: Header=BB5_5 Depth=1
	s_or_b32 exec_lo, exec_lo, s18
.LBB5_11:                               ;   in Loop: Header=BB5_5 Depth=1
	s_and_not1_saveexec_b32 s17, s17
	s_cbranch_execz .LBB5_15
; %bb.12:                               ;   in Loop: Header=BB5_5 Depth=1
	s_mov_b32 s18, exec_lo
	v_cmpx_eq_u32_e32 1, v38
; %bb.13:                               ;   in Loop: Header=BB5_5 Depth=1
	v_dual_mov_b32 v1, v2 :: v_dual_mov_b32 v2, v3
	v_dual_mov_b32 v3, v4 :: v_dual_mov_b32 v4, v5
; %bb.14:                               ;   in Loop: Header=BB5_5 Depth=1
	s_or_b32 exec_lo, exec_lo, s18
.LBB5_15:                               ;   in Loop: Header=BB5_5 Depth=1
	s_delay_alu instid0(SALU_CYCLE_1) | instskip(SKIP_2) | instid1(VALU_DEP_1)
	s_or_b32 exec_lo, exec_lo, s17
	v_add_nc_u32_e32 v8, s12, v0
	s_mov_b32 s17, exec_lo
	v_cmpx_gt_i32_e64 s3, v8
	s_cbranch_execz .LBB5_20
; %bb.16:                               ;   in Loop: Header=BB5_5 Depth=1
	v_ashrrev_i32_e32 v9, 31, v8
	s_mov_b32 s18, exec_lo
	s_delay_alu instid0(VALU_DEP_1) | instskip(NEXT) | instid1(VALU_DEP_1)
	v_lshlrev_b64 v[8:9], 1, v[8:9]
	v_add_co_u32 v10, vcc_lo, s6, v8
	s_delay_alu instid0(VALU_DEP_2)
	v_add_co_ci_u32_e32 v11, vcc_lo, s7, v9, vcc_lo
	global_load_u16 v10, v[10:11], off
	s_waitcnt vmcnt(0)
	v_cmpx_ge_f16_e32 0, v10
	s_xor_b32 s18, exec_lo, s18
	s_cbranch_execz .LBB5_18
; %bb.17:                               ;   in Loop: Header=BB5_5 Depth=1
	v_cvt_f32_u32_e32 v1, v1
	s_delay_alu instid0(VALU_DEP_1) | instskip(NEXT) | instid1(VALU_DEP_1)
	v_fma_mixlo_f16 v1, v1, s16, s16
	v_cvt_f32_f16_e32 v1, v1
	s_delay_alu instid0(VALU_DEP_1) | instskip(NEXT) | instid1(VALU_DEP_1)
	v_cvt_f64_f32_e32 v[42:43], v1
	v_fma_f64 v[42:43], v[14:15], v[42:43], s[10:11]
	s_delay_alu instid0(VALU_DEP_1)
	v_cvt_f32_f64_e32 v1, v[42:43]
	v_add_co_u32 v42, vcc_lo, s4, v8
	v_add_co_ci_u32_e32 v43, vcc_lo, s5, v9, vcc_lo
	v_add_co_u32 v8, vcc_lo, s8, v8
	v_add_co_ci_u32_e32 v9, vcc_lo, s9, v9, vcc_lo
	v_cvt_f16_f32_e32 v1, v1
	s_delay_alu instid0(VALU_DEP_1)
	v_mul_f16_e32 v10, v10, v1
	global_store_b16 v[42:43], v10, off
	global_store_b16 v[8:9], v1, off
                                        ; implicit-def: $vgpr8_vgpr9
                                        ; implicit-def: $vgpr10
.LBB5_18:                               ;   in Loop: Header=BB5_5 Depth=1
	s_and_not1_saveexec_b32 s18, s18
	s_cbranch_execz .LBB5_20
; %bb.19:                               ;   in Loop: Header=BB5_5 Depth=1
	v_add_co_u32 v42, vcc_lo, s4, v8
	v_add_co_ci_u32_e32 v43, vcc_lo, s5, v9, vcc_lo
	v_add_co_u32 v8, vcc_lo, s8, v8
	v_add_co_ci_u32_e32 v9, vcc_lo, s9, v9, vcc_lo
	global_store_b16 v[42:43], v10, off
	global_store_b16 v[8:9], v41, off
.LBB5_20:                               ;   in Loop: Header=BB5_5 Depth=1
	s_or_b32 exec_lo, exec_lo, s17
	v_add_nc_u32_e32 v8, s15, v0
	s_mov_b32 s17, exec_lo
	s_delay_alu instid0(VALU_DEP_1)
	v_cmpx_gt_i32_e64 s3, v8
	s_cbranch_execz .LBB5_25
; %bb.21:                               ;   in Loop: Header=BB5_5 Depth=1
	v_ashrrev_i32_e32 v9, 31, v8
	s_mov_b32 s18, exec_lo
	s_delay_alu instid0(VALU_DEP_1) | instskip(NEXT) | instid1(VALU_DEP_1)
	v_lshlrev_b64 v[8:9], 1, v[8:9]
	v_add_co_u32 v10, vcc_lo, s6, v8
	s_delay_alu instid0(VALU_DEP_2)
	v_add_co_ci_u32_e32 v11, vcc_lo, s7, v9, vcc_lo
	global_load_u16 v1, v[10:11], off
	s_waitcnt vmcnt(0)
	v_cmpx_ge_f16_e32 0, v1
	s_xor_b32 s18, exec_lo, s18
	s_cbranch_execz .LBB5_23
; %bb.22:                               ;   in Loop: Header=BB5_5 Depth=1
	v_cvt_f32_u32_e32 v2, v2
	s_delay_alu instid0(VALU_DEP_1) | instskip(NEXT) | instid1(VALU_DEP_1)
	v_fma_mixlo_f16 v2, v2, s16, s16
	v_cvt_f32_f16_e32 v2, v2
	s_delay_alu instid0(VALU_DEP_1) | instskip(NEXT) | instid1(VALU_DEP_1)
	v_cvt_f64_f32_e32 v[10:11], v2
	v_fma_f64 v[10:11], v[14:15], v[10:11], s[10:11]
	s_delay_alu instid0(VALU_DEP_1) | instskip(SKIP_2) | instid1(VALU_DEP_3)
	v_cvt_f32_f64_e32 v2, v[10:11]
	v_add_co_u32 v10, vcc_lo, s4, v8
	v_add_co_ci_u32_e32 v11, vcc_lo, s5, v9, vcc_lo
	v_cvt_f16_f32_e32 v17, v2
	s_delay_alu instid0(VALU_DEP_1)
	v_mul_f16_e32 v42, v1, v17
	v_add_co_u32 v1, vcc_lo, s8, v8
	v_add_co_ci_u32_e32 v2, vcc_lo, s9, v9, vcc_lo
                                        ; implicit-def: $vgpr8_vgpr9
	global_store_b16 v[10:11], v42, off
	global_store_b16 v[1:2], v17, off
                                        ; implicit-def: $vgpr1
.LBB5_23:                               ;   in Loop: Header=BB5_5 Depth=1
	s_and_not1_saveexec_b32 s18, s18
	s_cbranch_execz .LBB5_25
; %bb.24:                               ;   in Loop: Header=BB5_5 Depth=1
	v_add_co_u32 v10, vcc_lo, s4, v8
	v_add_co_ci_u32_e32 v11, vcc_lo, s5, v9, vcc_lo
	v_add_co_u32 v8, vcc_lo, s8, v8
	v_add_co_ci_u32_e32 v9, vcc_lo, s9, v9, vcc_lo
	global_store_b16 v[10:11], v1, off
	global_store_b16 v[8:9], v41, off
.LBB5_25:                               ;   in Loop: Header=BB5_5 Depth=1
	s_or_b32 exec_lo, exec_lo, s17
	v_add_nc_u32_e32 v1, s1, v0
	s_mov_b32 s17, exec_lo
	s_delay_alu instid0(VALU_DEP_1)
	v_cmpx_gt_i32_e64 s3, v1
	s_cbranch_execz .LBB5_30
; %bb.26:                               ;   in Loop: Header=BB5_5 Depth=1
	v_ashrrev_i32_e32 v2, 31, v1
	s_mov_b32 s18, exec_lo
	s_delay_alu instid0(VALU_DEP_1) | instskip(NEXT) | instid1(VALU_DEP_1)
	v_lshlrev_b64 v[1:2], 1, v[1:2]
	v_add_co_u32 v8, vcc_lo, s6, v1
	s_delay_alu instid0(VALU_DEP_2)
	v_add_co_ci_u32_e32 v9, vcc_lo, s7, v2, vcc_lo
	global_load_u16 v8, v[8:9], off
	s_waitcnt vmcnt(0)
	v_cmpx_ge_f16_e32 0, v8
	s_xor_b32 s18, exec_lo, s18
	s_cbranch_execz .LBB5_28
; %bb.27:                               ;   in Loop: Header=BB5_5 Depth=1
	v_cvt_f32_u32_e32 v3, v3
	s_delay_alu instid0(VALU_DEP_1) | instskip(NEXT) | instid1(VALU_DEP_1)
	v_fma_mixlo_f16 v3, v3, s16, s16
	v_cvt_f32_f16_e32 v3, v3
	s_delay_alu instid0(VALU_DEP_1) | instskip(NEXT) | instid1(VALU_DEP_1)
	v_cvt_f64_f32_e32 v[9:10], v3
	v_fma_f64 v[9:10], v[14:15], v[9:10], s[10:11]
	s_delay_alu instid0(VALU_DEP_1)
	v_cvt_f32_f64_e32 v3, v[9:10]
	v_add_co_u32 v9, vcc_lo, s4, v1
	v_add_co_ci_u32_e32 v10, vcc_lo, s5, v2, vcc_lo
	v_add_co_u32 v1, vcc_lo, s8, v1
	v_add_co_ci_u32_e32 v2, vcc_lo, s9, v2, vcc_lo
	v_cvt_f16_f32_e32 v3, v3
	s_delay_alu instid0(VALU_DEP_1)
	v_mul_f16_e32 v8, v8, v3
	global_store_b16 v[9:10], v8, off
	global_store_b16 v[1:2], v3, off
                                        ; implicit-def: $vgpr1_vgpr2
                                        ; implicit-def: $vgpr8
.LBB5_28:                               ;   in Loop: Header=BB5_5 Depth=1
	s_and_not1_saveexec_b32 s18, s18
	s_cbranch_execz .LBB5_30
; %bb.29:                               ;   in Loop: Header=BB5_5 Depth=1
	v_add_co_u32 v9, vcc_lo, s4, v1
	v_add_co_ci_u32_e32 v10, vcc_lo, s5, v2, vcc_lo
	v_add_co_u32 v1, vcc_lo, s8, v1
	v_add_co_ci_u32_e32 v2, vcc_lo, s9, v2, vcc_lo
	global_store_b16 v[9:10], v8, off
	global_store_b16 v[1:2], v41, off
.LBB5_30:                               ;   in Loop: Header=BB5_5 Depth=1
	s_or_b32 exec_lo, exec_lo, s17
	v_add_nc_u32_e32 v1, s14, v0
	s_mov_b32 s17, exec_lo
	s_delay_alu instid0(VALU_DEP_1)
	v_cmpx_gt_i32_e64 s3, v1
	s_cbranch_execz .LBB5_4
; %bb.31:                               ;   in Loop: Header=BB5_5 Depth=1
	v_ashrrev_i32_e32 v2, 31, v1
	s_mov_b32 s18, exec_lo
	s_delay_alu instid0(VALU_DEP_1) | instskip(NEXT) | instid1(VALU_DEP_1)
	v_lshlrev_b64 v[1:2], 1, v[1:2]
	v_add_co_u32 v8, vcc_lo, s6, v1
	s_delay_alu instid0(VALU_DEP_2)
	v_add_co_ci_u32_e32 v9, vcc_lo, s7, v2, vcc_lo
	global_load_u16 v3, v[8:9], off
	s_waitcnt vmcnt(0)
	v_cmpx_ge_f16_e32 0, v3
	s_xor_b32 s18, exec_lo, s18
	s_cbranch_execz .LBB5_33
; %bb.32:                               ;   in Loop: Header=BB5_5 Depth=1
	v_cvt_f32_u32_e32 v4, v4
	s_delay_alu instid0(VALU_DEP_1) | instskip(NEXT) | instid1(VALU_DEP_1)
	v_fma_mixlo_f16 v4, v4, s16, s16
	v_cvt_f32_f16_e32 v4, v4
	s_delay_alu instid0(VALU_DEP_1) | instskip(NEXT) | instid1(VALU_DEP_1)
	v_cvt_f64_f32_e32 v[8:9], v4
	v_fma_f64 v[8:9], v[14:15], v[8:9], s[10:11]
	s_delay_alu instid0(VALU_DEP_1)
	v_cvt_f32_f64_e32 v4, v[8:9]
	v_add_co_u32 v8, vcc_lo, s4, v1
	v_add_co_ci_u32_e32 v9, vcc_lo, s5, v2, vcc_lo
	v_add_co_u32 v1, vcc_lo, s8, v1
	v_add_co_ci_u32_e32 v2, vcc_lo, s9, v2, vcc_lo
	v_cvt_f16_f32_e32 v4, v4
	s_delay_alu instid0(VALU_DEP_1)
	v_mul_f16_e32 v3, v3, v4
	global_store_b16 v[8:9], v3, off
	global_store_b16 v[1:2], v4, off
                                        ; implicit-def: $vgpr1_vgpr2
                                        ; implicit-def: $vgpr3
.LBB5_33:                               ;   in Loop: Header=BB5_5 Depth=1
	s_and_not1_saveexec_b32 s18, s18
	s_cbranch_execz .LBB5_4
; %bb.34:                               ;   in Loop: Header=BB5_5 Depth=1
	v_add_co_u32 v8, vcc_lo, s4, v1
	v_add_co_ci_u32_e32 v9, vcc_lo, s5, v2, vcc_lo
	v_add_co_u32 v1, vcc_lo, s8, v1
	v_add_co_ci_u32_e32 v2, vcc_lo, s9, v2, vcc_lo
	global_store_b16 v[8:9], v3, off
	global_store_b16 v[1:2], v41, off
	s_branch .LBB5_4
.LBB5_35:
	s_endpgm
	.section	.rodata,"a",@progbits
	.p2align	6, 0x0
	.amdhsa_kernel _ZN2at6native28rrelu_with_noise_cuda_kernelIN3c104HalfELi4EZNS0_28_rrelu_with_noise_cuda_trainIS3_EEvRNS_6TensorERKS5_S6_RKNS2_6ScalarESB_St8optionalINS_9GeneratorEEEUlP25hiprandStatePhilox4_32_10E0_EEviNS_15PhiloxCudaStateEPT_PKSJ_SK_ddRKT1_
		.amdhsa_group_segment_fixed_size 0
		.amdhsa_private_segment_fixed_size 0
		.amdhsa_kernarg_size 344
		.amdhsa_user_sgpr_count 15
		.amdhsa_user_sgpr_dispatch_ptr 0
		.amdhsa_user_sgpr_queue_ptr 0
		.amdhsa_user_sgpr_kernarg_segment_ptr 1
		.amdhsa_user_sgpr_dispatch_id 0
		.amdhsa_user_sgpr_private_segment_size 0
		.amdhsa_wavefront_size32 1
		.amdhsa_uses_dynamic_stack 0
		.amdhsa_enable_private_segment 0
		.amdhsa_system_sgpr_workgroup_id_x 1
		.amdhsa_system_sgpr_workgroup_id_y 0
		.amdhsa_system_sgpr_workgroup_id_z 0
		.amdhsa_system_sgpr_workgroup_info 0
		.amdhsa_system_vgpr_workitem_id 0
		.amdhsa_next_free_vgpr 44
		.amdhsa_next_free_sgpr 19
		.amdhsa_reserve_vcc 1
		.amdhsa_float_round_mode_32 0
		.amdhsa_float_round_mode_16_64 0
		.amdhsa_float_denorm_mode_32 3
		.amdhsa_float_denorm_mode_16_64 3
		.amdhsa_dx10_clamp 1
		.amdhsa_ieee_mode 1
		.amdhsa_fp16_overflow 0
		.amdhsa_workgroup_processor_mode 1
		.amdhsa_memory_ordered 1
		.amdhsa_forward_progress 0
		.amdhsa_shared_vgpr_count 0
		.amdhsa_exception_fp_ieee_invalid_op 0
		.amdhsa_exception_fp_denorm_src 0
		.amdhsa_exception_fp_ieee_div_zero 0
		.amdhsa_exception_fp_ieee_overflow 0
		.amdhsa_exception_fp_ieee_underflow 0
		.amdhsa_exception_fp_ieee_inexact 0
		.amdhsa_exception_int_div_zero 0
	.end_amdhsa_kernel
	.section	.text._ZN2at6native28rrelu_with_noise_cuda_kernelIN3c104HalfELi4EZNS0_28_rrelu_with_noise_cuda_trainIS3_EEvRNS_6TensorERKS5_S6_RKNS2_6ScalarESB_St8optionalINS_9GeneratorEEEUlP25hiprandStatePhilox4_32_10E0_EEviNS_15PhiloxCudaStateEPT_PKSJ_SK_ddRKT1_,"axG",@progbits,_ZN2at6native28rrelu_with_noise_cuda_kernelIN3c104HalfELi4EZNS0_28_rrelu_with_noise_cuda_trainIS3_EEvRNS_6TensorERKS5_S6_RKNS2_6ScalarESB_St8optionalINS_9GeneratorEEEUlP25hiprandStatePhilox4_32_10E0_EEviNS_15PhiloxCudaStateEPT_PKSJ_SK_ddRKT1_,comdat
.Lfunc_end5:
	.size	_ZN2at6native28rrelu_with_noise_cuda_kernelIN3c104HalfELi4EZNS0_28_rrelu_with_noise_cuda_trainIS3_EEvRNS_6TensorERKS5_S6_RKNS2_6ScalarESB_St8optionalINS_9GeneratorEEEUlP25hiprandStatePhilox4_32_10E0_EEviNS_15PhiloxCudaStateEPT_PKSJ_SK_ddRKT1_, .Lfunc_end5-_ZN2at6native28rrelu_with_noise_cuda_kernelIN3c104HalfELi4EZNS0_28_rrelu_with_noise_cuda_trainIS3_EEvRNS_6TensorERKS5_S6_RKNS2_6ScalarESB_St8optionalINS_9GeneratorEEEUlP25hiprandStatePhilox4_32_10E0_EEviNS_15PhiloxCudaStateEPT_PKSJ_SK_ddRKT1_
                                        ; -- End function
	.section	.AMDGPU.csdata,"",@progbits
; Kernel info:
; codeLenInByte = 2788
; NumSgprs: 21
; NumVgprs: 44
; ScratchSize: 0
; MemoryBound: 0
; FloatMode: 240
; IeeeMode: 1
; LDSByteSize: 0 bytes/workgroup (compile time only)
; SGPRBlocks: 2
; VGPRBlocks: 5
; NumSGPRsForWavesPerEU: 21
; NumVGPRsForWavesPerEU: 44
; Occupancy: 16
; WaveLimiterHint : 0
; COMPUTE_PGM_RSRC2:SCRATCH_EN: 0
; COMPUTE_PGM_RSRC2:USER_SGPR: 15
; COMPUTE_PGM_RSRC2:TRAP_HANDLER: 0
; COMPUTE_PGM_RSRC2:TGID_X_EN: 1
; COMPUTE_PGM_RSRC2:TGID_Y_EN: 0
; COMPUTE_PGM_RSRC2:TGID_Z_EN: 0
; COMPUTE_PGM_RSRC2:TIDIG_COMP_CNT: 0
	.section	.text._ZN2at6native28rrelu_with_noise_cuda_kernelIN3c108BFloat16ELi2EZNS0_28_rrelu_with_noise_cuda_trainIS3_EEvRNS_6TensorERKS5_S6_RKNS2_6ScalarESB_St8optionalINS_9GeneratorEEEUlP25hiprandStatePhilox4_32_10E_EEviNS_15PhiloxCudaStateEPT_PKSJ_SK_ddRKT1_,"axG",@progbits,_ZN2at6native28rrelu_with_noise_cuda_kernelIN3c108BFloat16ELi2EZNS0_28_rrelu_with_noise_cuda_trainIS3_EEvRNS_6TensorERKS5_S6_RKNS2_6ScalarESB_St8optionalINS_9GeneratorEEEUlP25hiprandStatePhilox4_32_10E_EEviNS_15PhiloxCudaStateEPT_PKSJ_SK_ddRKT1_,comdat
	.protected	_ZN2at6native28rrelu_with_noise_cuda_kernelIN3c108BFloat16ELi2EZNS0_28_rrelu_with_noise_cuda_trainIS3_EEvRNS_6TensorERKS5_S6_RKNS2_6ScalarESB_St8optionalINS_9GeneratorEEEUlP25hiprandStatePhilox4_32_10E_EEviNS_15PhiloxCudaStateEPT_PKSJ_SK_ddRKT1_ ; -- Begin function _ZN2at6native28rrelu_with_noise_cuda_kernelIN3c108BFloat16ELi2EZNS0_28_rrelu_with_noise_cuda_trainIS3_EEvRNS_6TensorERKS5_S6_RKNS2_6ScalarESB_St8optionalINS_9GeneratorEEEUlP25hiprandStatePhilox4_32_10E_EEviNS_15PhiloxCudaStateEPT_PKSJ_SK_ddRKT1_
	.globl	_ZN2at6native28rrelu_with_noise_cuda_kernelIN3c108BFloat16ELi2EZNS0_28_rrelu_with_noise_cuda_trainIS3_EEvRNS_6TensorERKS5_S6_RKNS2_6ScalarESB_St8optionalINS_9GeneratorEEEUlP25hiprandStatePhilox4_32_10E_EEviNS_15PhiloxCudaStateEPT_PKSJ_SK_ddRKT1_
	.p2align	8
	.type	_ZN2at6native28rrelu_with_noise_cuda_kernelIN3c108BFloat16ELi2EZNS0_28_rrelu_with_noise_cuda_trainIS3_EEvRNS_6TensorERKS5_S6_RKNS2_6ScalarESB_St8optionalINS_9GeneratorEEEUlP25hiprandStatePhilox4_32_10E_EEviNS_15PhiloxCudaStateEPT_PKSJ_SK_ddRKT1_,@function
_ZN2at6native28rrelu_with_noise_cuda_kernelIN3c108BFloat16ELi2EZNS0_28_rrelu_with_noise_cuda_trainIS3_EEvRNS_6TensorERKS5_S6_RKNS2_6ScalarESB_St8optionalINS_9GeneratorEEEUlP25hiprandStatePhilox4_32_10E_EEviNS_15PhiloxCudaStateEPT_PKSJ_SK_ddRKT1_: ; @_ZN2at6native28rrelu_with_noise_cuda_kernelIN3c108BFloat16ELi2EZNS0_28_rrelu_with_noise_cuda_trainIS3_EEvRNS_6TensorERKS5_S6_RKNS2_6ScalarESB_St8optionalINS_9GeneratorEEEUlP25hiprandStatePhilox4_32_10E_EEviNS_15PhiloxCudaStateEPT_PKSJ_SK_ddRKT1_
; %bb.0:
	s_clause 0x1
	s_load_b128 s[4:7], s[0:1], 0x8
	s_load_b32 s2, s[0:1], 0x20
	s_waitcnt lgkmcnt(0)
	v_dual_mov_b32 v1, s6 :: v_dual_mov_b32 v2, s7
	v_dual_mov_b32 v13, s5 :: v_dual_mov_b32 v12, s4
	s_bitcmp0_b32 s2, 0
	s_cbranch_scc1 .LBB6_2
; %bb.1:
	v_dual_mov_b32 v1, s6 :: v_dual_mov_b32 v2, s7
	v_dual_mov_b32 v3, s4 :: v_dual_mov_b32 v4, s5
	s_load_b64 s[2:3], s[0:1], 0x18
	flat_load_b64 v[1:2], v[1:2]
	flat_load_b64 v[12:13], v[3:4]
	s_waitcnt vmcnt(1) lgkmcnt(0)
	v_add_co_u32 v1, vcc_lo, v1, s2
	v_add_co_ci_u32_e32 v2, vcc_lo, s3, v2, vcc_lo
.LBB6_2:
	s_clause 0x2
	s_load_b32 s2, s[0:1], 0x64
	s_load_b32 s16, s[0:1], 0x58
	;; [unrolled: 1-line block ×3, first 2 shown]
	s_waitcnt lgkmcnt(0)
	s_and_b32 s14, s2, 0xffff
	s_add_i32 s7, s3, -1
	s_mul_i32 s2, s16, s14
	s_mul_i32 s12, s15, s14
	s_lshl_b32 s2, s2, 1
	s_abs_i32 s8, s7
	s_abs_i32 s4, s2
	v_add_nc_u32_e32 v18, s12, v0
	v_cvt_f32_u32_e32 v3, s4
	s_sub_i32 s6, 0, s4
	s_delay_alu instid0(VALU_DEP_1) | instskip(SKIP_2) | instid1(VALU_DEP_1)
	v_rcp_iflag_f32_e32 v3, v3
	s_waitcnt_depctr 0xfff
	v_mul_f32_e32 v3, 0x4f7ffffe, v3
	v_cvt_u32_f32_e32 v3, v3
	s_delay_alu instid0(VALU_DEP_1) | instskip(NEXT) | instid1(VALU_DEP_1)
	v_readfirstlane_b32 s5, v3
	s_mul_i32 s6, s6, s5
	s_delay_alu instid0(SALU_CYCLE_1) | instskip(NEXT) | instid1(SALU_CYCLE_1)
	s_mul_hi_u32 s6, s5, s6
	s_add_i32 s5, s5, s6
	s_xor_b32 s6, s7, s2
	s_mul_hi_u32 s5, s8, s5
	s_ashr_i32 s6, s6, 31
	s_mul_i32 s7, s5, s4
	s_delay_alu instid0(SALU_CYCLE_1)
	s_sub_i32 s7, s8, s7
	s_add_i32 s8, s5, 1
	s_sub_i32 s9, s7, s4
	s_cmp_ge_u32 s7, s4
	s_cselect_b32 s5, s8, s5
	s_cselect_b32 s7, s9, s7
	s_add_i32 s8, s5, 1
	s_cmp_ge_u32 s7, s4
	s_cselect_b32 s4, s8, s5
	s_delay_alu instid0(SALU_CYCLE_1) | instskip(NEXT) | instid1(SALU_CYCLE_1)
	s_xor_b32 s4, s4, s6
	s_sub_i32 s4, s4, s6
	s_delay_alu instid0(SALU_CYCLE_1) | instskip(NEXT) | instid1(SALU_CYCLE_1)
	s_add_i32 s4, s4, 1
	s_mul_i32 s13, s2, s4
	s_mov_b32 s4, exec_lo
	v_cmpx_gt_i32_e64 s13, v18
	s_cbranch_execz .LBB6_23
; %bb.3:
	v_alignbit_b32 v19, v2, v1, 2
	v_mad_u64_u32 v[5:6], null, 0xcd9e8d57, v18, 0
	v_lshrrev_b32_e32 v20, 2, v2
	v_ashrrev_i32_e32 v21, 31, v18
	s_delay_alu instid0(VALU_DEP_4) | instskip(SKIP_4) | instid1(VALU_DEP_4)
	v_mad_u64_u32 v[3:4], null, 0xd2511f53, v19, 0
	s_waitcnt vmcnt(0)
	v_dual_mov_b32 v10, v13 :: v_dual_add_nc_u32 v39, 0x96a522ad, v13
	v_add_co_u32 v23, null, 0x9e3779b9, v12
	v_add_co_u32 v24, null, 0x3c6ef372, v12
	v_xor_b32_e32 v2, v4, v13
	v_xor3_b32 v4, v12, v6, v20
	v_add_co_u32 v22, null, 0xbb67ae85, v10
	v_add_co_u32 v25, null, 0x76cf5d0a, v10
	s_delay_alu instid0(VALU_DEP_4) | instskip(NEXT) | instid1(VALU_DEP_4)
	v_xor_b32_e32 v2, v2, v21
	v_mad_u64_u32 v[6:7], null, 0xd2511f53, v4, 0
	v_add_co_u32 v26, null, 0x32370b8f, v10
	s_delay_alu instid0(VALU_DEP_3) | instskip(SKIP_1) | instid1(VALU_DEP_4)
	v_mad_u64_u32 v[8:9], null, 0xcd9e8d57, v2, 0
	v_add_co_u32 v27, null, 0xdaa66d2b, v12
	v_xor3_b32 v4, v22, v7, v3
	v_add_co_u32 v28, null, 0x78dde6e4, v12
	v_add_co_u32 v29, null, 0xed9eba14, v10
	v_xor3_b32 v7, v23, v9, v5
	s_delay_alu instid0(VALU_DEP_4) | instskip(SKIP_1) | instid1(VALU_DEP_3)
	v_mad_u64_u32 v[2:3], null, 0xcd9e8d57, v4, 0
	v_add_co_u32 v30, null, 0xa9066899, v10
	v_mad_u64_u32 v[4:5], null, 0xd2511f53, v7, 0
	v_add_co_u32 v31, null, 0x1715609d, v12
	s_delay_alu instid0(VALU_DEP_4) | instskip(SKIP_4) | instid1(VALU_DEP_4)
	v_xor3_b32 v3, v24, v3, v8
	s_clause 0x1
	s_load_b256 s[4:11], s[0:1], 0x28
	s_load_b64 s[0:1], s[0:1], 0x48
	v_add_co_u32 v32, null, 0x646e171e, v10
	v_xor3_b32 v9, v25, v5, v6
	v_mad_u64_u32 v[5:6], null, 0xd2511f53, v3, 0
	v_add_co_u32 v33, null, 0xb54cda56, v12
	s_delay_alu instid0(VALU_DEP_3) | instskip(SKIP_1) | instid1(VALU_DEP_4)
	v_mad_u64_u32 v[7:8], null, 0xcd9e8d57, v9, 0
	v_add_co_u32 v34, null, 0x5384540f, v12
	v_xor3_b32 v4, v26, v6, v4
	v_add_co_u32 v35, null, 0x1fd5c5a3, v10
	v_add_co_u32 v36, null, 0xdb3d7428, v10
	v_xor3_b32 v6, v27, v8, v2
	s_delay_alu instid0(VALU_DEP_4)
	v_mad_u64_u32 v[2:3], null, 0xcd9e8d57, v4, 0
	s_waitcnt lgkmcnt(0)
	v_add_f64 v[14:15], s[0:1], -s[10:11]
	v_add_co_u32 v37, null, 0xf1bbcdc8, v12
	v_mad_u64_u32 v[8:9], null, 0xd2511f53, v6, 0
	v_add_nc_u32_e32 v38, 0x8ff34781, v12
	v_xor3_b32 v6, v28, v3, v7
	v_and_b32_e32 v40, 3, v1
	s_add_i32 s1, s15, s16
	s_mov_b32 s0, 0
	s_mul_i32 s1, s1, s14
	s_delay_alu instid0(VALU_DEP_4) | instskip(SKIP_1) | instid1(VALU_DEP_2)
	v_xor3_b32 v7, v29, v9, v5
	v_mad_u64_u32 v[3:4], null, 0xd2511f53, v6, 0
	v_mad_u64_u32 v[5:6], null, 0xcd9e8d57, v7, 0
	s_delay_alu instid0(VALU_DEP_2) | instskip(NEXT) | instid1(VALU_DEP_2)
	v_xor3_b32 v4, v30, v4, v8
	v_xor3_b32 v2, v31, v6, v2
	s_delay_alu instid0(VALU_DEP_2) | instskip(NEXT) | instid1(VALU_DEP_2)
	v_mad_u64_u32 v[6:7], null, 0xcd9e8d57, v4, 0
	v_mad_u64_u32 v[8:9], null, 0xd2511f53, v2, 0
	s_delay_alu instid0(VALU_DEP_2) | instskip(NEXT) | instid1(VALU_DEP_2)
	v_xor3_b32 v7, v33, v7, v5
	v_xor3_b32 v4, v32, v9, v3
	s_delay_alu instid0(VALU_DEP_1) | instskip(NEXT) | instid1(VALU_DEP_3)
	v_mad_u64_u32 v[2:3], null, 0xcd9e8d57, v4, 0
	v_mad_u64_u32 v[4:5], null, 0xd2511f53, v7, 0
	s_delay_alu instid0(VALU_DEP_2) | instskip(NEXT) | instid1(VALU_DEP_2)
	v_xor3_b32 v3, v34, v3, v6
	v_xor3_b32 v9, v35, v5, v8
	s_delay_alu instid0(VALU_DEP_2) | instskip(NEXT) | instid1(VALU_DEP_2)
	v_mad_u64_u32 v[5:6], null, 0xd2511f53, v3, 0
	v_mad_u64_u32 v[7:8], null, 0xcd9e8d57, v9, 0
	s_delay_alu instid0(VALU_DEP_2) | instskip(NEXT) | instid1(VALU_DEP_2)
	v_xor3_b32 v4, v36, v6, v4
	v_xor3_b32 v6, v37, v8, v2
	s_delay_alu instid0(VALU_DEP_2) | instskip(NEXT) | instid1(VALU_DEP_2)
	v_mad_u64_u32 v[2:3], null, 0xcd9e8d57, v4, 0
	v_mad_u64_u32 v[8:9], null, 0xd2511f53, v6, 0
	s_delay_alu instid0(VALU_DEP_2) | instskip(NEXT) | instid1(VALU_DEP_2)
	v_xor3_b32 v1, v3, v7, v38
	v_xor3_b32 v3, v9, v5, v39
	s_delay_alu instid0(VALU_DEP_3)
	v_mov_b32_e32 v4, v8
	s_branch .LBB6_6
.LBB6_4:                                ;   in Loop: Header=BB6_6 Depth=1
	s_or_b32 exec_lo, exec_lo, s15
	v_add_co_u32 v3, vcc_lo, s4, v1
	v_add_co_ci_u32_e32 v4, vcc_lo, s5, v2, vcc_lo
	v_add_co_u32 v1, vcc_lo, s8, v1
	v_add_co_ci_u32_e32 v2, vcc_lo, s9, v2, vcc_lo
	global_store_b16 v[3:4], v10, off
	global_store_b16 v[1:2], v8, off
.LBB6_5:                                ;   in Loop: Header=BB6_6 Depth=1
	s_or_b32 exec_lo, exec_lo, s14
	v_mov_b32_e32 v8, v16
	v_add_nc_u32_e32 v0, s2, v0
	s_waitcnt_vscnt null, 0x0
	s_barrier
	buffer_gl0_inv
	v_add_nc_u32_e32 v1, s12, v0
	s_delay_alu instid0(VALU_DEP_1) | instskip(SKIP_3) | instid1(SALU_CYCLE_1)
	v_cmp_le_i32_e32 vcc_lo, s13, v1
	v_dual_mov_b32 v1, v5 :: v_dual_mov_b32 v2, v6
	v_dual_mov_b32 v3, v7 :: v_dual_mov_b32 v4, v8
	s_or_b32 s0, vcc_lo, s0
	s_and_not1_b32 exec_lo, exec_lo, s0
	s_cbranch_execz .LBB6_23
.LBB6_6:                                ; =>This Inner Loop Header: Depth=1
	v_add_co_u32 v19, vcc_lo, v19, 1
	s_delay_alu instid0(VALU_DEP_1) | instskip(SKIP_2) | instid1(VALU_DEP_1)
	v_cndmask_b32_e64 v5, 0, 1, vcc_lo
	v_add_co_ci_u32_e32 v20, vcc_lo, 0, v20, vcc_lo
	s_mov_b32 s14, exec_lo
	v_cmp_eq_u32_e32 vcc_lo, 0, v20
	s_delay_alu instid0(VALU_DEP_3) | instskip(NEXT) | instid1(VALU_DEP_1)
	v_cndmask_b32_e32 v5, 0, v5, vcc_lo
	v_add_nc_u32_e32 v18, v5, v18
	s_delay_alu instid0(VALU_DEP_1) | instskip(SKIP_2) | instid1(VALU_DEP_2)
	v_cmp_eq_u32_e32 vcc_lo, 0, v18
	v_cndmask_b32_e32 v5, 0, v5, vcc_lo
	v_mad_u64_u32 v[7:8], null, 0xcd9e8d57, v18, 0
	v_add_nc_u32_e32 v21, v5, v21
	v_mad_u64_u32 v[5:6], null, 0xd2511f53, v19, 0
	s_delay_alu instid0(VALU_DEP_3) | instskip(NEXT) | instid1(VALU_DEP_2)
	v_xor3_b32 v10, v8, v12, v20
	v_xor_b32_e32 v6, v6, v13
	s_delay_alu instid0(VALU_DEP_2) | instskip(NEXT) | instid1(VALU_DEP_2)
	v_mad_u64_u32 v[8:9], null, 0xd2511f53, v10, 0
	v_xor_b32_e32 v6, v21, v6
	s_delay_alu instid0(VALU_DEP_2) | instskip(NEXT) | instid1(VALU_DEP_2)
	v_xor3_b32 v9, v22, v9, v5
	v_mad_u64_u32 v[10:11], null, 0xcd9e8d57, v6, 0
	s_delay_alu instid0(VALU_DEP_2) | instskip(NEXT) | instid1(VALU_DEP_2)
	v_mad_u64_u32 v[5:6], null, 0xcd9e8d57, v9, 0
	v_xor3_b32 v7, v23, v11, v7
	s_delay_alu instid0(VALU_DEP_2) | instskip(NEXT) | instid1(VALU_DEP_2)
	v_xor3_b32 v9, v24, v6, v10
	v_mad_u64_u32 v[16:17], null, 0xd2511f53, v7, 0
	s_delay_alu instid0(VALU_DEP_2) | instskip(NEXT) | instid1(VALU_DEP_2)
	v_mad_u64_u32 v[6:7], null, 0xd2511f53, v9, 0
	v_xor3_b32 v10, v25, v17, v8
	s_delay_alu instid0(VALU_DEP_2) | instskip(NEXT) | instid1(VALU_DEP_2)
	v_xor3_b32 v7, v26, v7, v16
	v_mad_u64_u32 v[8:9], null, 0xcd9e8d57, v10, 0
	s_delay_alu instid0(VALU_DEP_1) | instskip(NEXT) | instid1(VALU_DEP_3)
	v_xor3_b32 v5, v27, v9, v5
	v_mad_u64_u32 v[9:10], null, 0xcd9e8d57, v7, 0
	s_delay_alu instid0(VALU_DEP_2) | instskip(NEXT) | instid1(VALU_DEP_2)
	v_mad_u64_u32 v[16:17], null, 0xd2511f53, v5, 0
	v_xor3_b32 v7, v28, v10, v8
	s_delay_alu instid0(VALU_DEP_2) | instskip(NEXT) | instid1(VALU_DEP_2)
	v_xor3_b32 v10, v29, v17, v6
	v_mad_u64_u32 v[5:6], null, 0xd2511f53, v7, 0
	s_delay_alu instid0(VALU_DEP_2) | instskip(NEXT) | instid1(VALU_DEP_2)
	v_mad_u64_u32 v[7:8], null, 0xcd9e8d57, v10, 0
	v_xor3_b32 v6, v30, v6, v16
	s_delay_alu instid0(VALU_DEP_2) | instskip(NEXT) | instid1(VALU_DEP_2)
	;; [unrolled: 6-line block ×6, first 2 shown]
	v_xor3_b32 v5, v7, v8, v38
	v_mov_b32_e32 v7, v11
	v_cmpx_lt_i32_e32 1, v40
	s_xor_b32 s14, exec_lo, s14
	s_cbranch_execz .LBB6_12
; %bb.7:                                ;   in Loop: Header=BB6_6 Depth=1
	s_mov_b32 s15, exec_lo
	v_cmpx_lt_i32_e32 2, v40
	s_xor_b32 s15, exec_lo, s15
; %bb.8:                                ;   in Loop: Header=BB6_6 Depth=1
	v_dual_mov_b32 v8, v4 :: v_dual_mov_b32 v9, v5
	v_mov_b32_e32 v10, v6
	s_delay_alu instid0(VALU_DEP_2) | instskip(NEXT) | instid1(VALU_DEP_2)
	v_dual_mov_b32 v1, v8 :: v_dual_mov_b32 v2, v9
	v_dual_mov_b32 v3, v10 :: v_dual_mov_b32 v4, v11
; %bb.9:                                ;   in Loop: Header=BB6_6 Depth=1
	s_and_not1_saveexec_b32 s15, s15
; %bb.10:                               ;   in Loop: Header=BB6_6 Depth=1
	s_delay_alu instid0(VALU_DEP_1)
	v_dual_mov_b32 v1, v3 :: v_dual_mov_b32 v2, v4
	v_dual_mov_b32 v3, v5 :: v_dual_mov_b32 v4, v6
; %bb.11:                               ;   in Loop: Header=BB6_6 Depth=1
	s_or_b32 exec_lo, exec_lo, s15
.LBB6_12:                               ;   in Loop: Header=BB6_6 Depth=1
	s_and_not1_saveexec_b32 s14, s14
	s_cbranch_execz .LBB6_16
; %bb.13:                               ;   in Loop: Header=BB6_6 Depth=1
	s_mov_b32 s15, exec_lo
	v_cmpx_eq_u32_e32 1, v40
; %bb.14:                               ;   in Loop: Header=BB6_6 Depth=1
	v_dual_mov_b32 v1, v2 :: v_dual_mov_b32 v2, v3
	v_dual_mov_b32 v3, v4 :: v_dual_mov_b32 v4, v5
; %bb.15:                               ;   in Loop: Header=BB6_6 Depth=1
	s_or_b32 exec_lo, exec_lo, s15
.LBB6_16:                               ;   in Loop: Header=BB6_6 Depth=1
	s_delay_alu instid0(SALU_CYCLE_1) | instskip(SKIP_2) | instid1(VALU_DEP_1)
	s_or_b32 exec_lo, exec_lo, s14
	v_add_nc_u32_e32 v8, s12, v0
	s_mov_b32 s14, exec_lo
	v_cmpx_gt_i32_e64 s3, v8
	s_cbranch_execz .LBB6_20
; %bb.17:                               ;   in Loop: Header=BB6_6 Depth=1
	v_ashrrev_i32_e32 v9, 31, v8
	s_mov_b32 s15, exec_lo
	s_delay_alu instid0(VALU_DEP_1) | instskip(NEXT) | instid1(VALU_DEP_1)
	v_lshlrev_b64 v[8:9], 1, v[8:9]
	v_add_co_u32 v10, vcc_lo, s6, v8
	s_delay_alu instid0(VALU_DEP_2) | instskip(SKIP_3) | instid1(VALU_DEP_1)
	v_add_co_ci_u32_e32 v11, vcc_lo, s7, v9, vcc_lo
	global_load_u16 v17, v[10:11], off
	s_waitcnt vmcnt(0)
	v_dual_mov_b32 v10, 0x3f80 :: v_dual_lshlrev_b32 v11, 16, v17
	v_cmpx_ge_f32_e32 0, v11
	s_cbranch_execz .LBB6_19
; %bb.18:                               ;   in Loop: Header=BB6_6 Depth=1
	v_lshrrev_b32_e32 v2, 11, v2
	s_delay_alu instid0(VALU_DEP_1) | instskip(SKIP_1) | instid1(VALU_DEP_2)
	v_cvt_f64_u32_e32 v[41:42], v2
	v_cvt_f64_u32_e32 v[1:2], v1
	v_ldexp_f64 v[41:42], v[41:42], 32
	s_delay_alu instid0(VALU_DEP_1) | instskip(NEXT) | instid1(VALU_DEP_1)
	v_add_f64 v[1:2], v[41:42], v[1:2]
	v_fma_f64 v[1:2], 0x3ca00000, v[1:2], 0x3ca00000
	s_delay_alu instid0(VALU_DEP_1) | instskip(NEXT) | instid1(VALU_DEP_1)
	v_cvt_f32_f64_e32 v1, v[1:2]
	v_bfe_u32 v2, v1, 16, 1
	s_delay_alu instid0(VALU_DEP_1) | instskip(NEXT) | instid1(VALU_DEP_1)
	v_add3_u32 v1, v1, v2, 0x7fff
	v_and_b32_e32 v1, 0xffff0000, v1
	s_delay_alu instid0(VALU_DEP_1) | instskip(NEXT) | instid1(VALU_DEP_1)
	v_cvt_f64_f32_e32 v[1:2], v1
	v_fma_f64 v[1:2], v[14:15], v[1:2], s[10:11]
	s_delay_alu instid0(VALU_DEP_1) | instskip(NEXT) | instid1(VALU_DEP_1)
	v_cvt_f32_f64_e32 v1, v[1:2]
	v_bfe_u32 v2, v1, 16, 1
	v_cmp_o_f32_e32 vcc_lo, v1, v1
	s_delay_alu instid0(VALU_DEP_2) | instskip(NEXT) | instid1(VALU_DEP_1)
	v_add3_u32 v2, v1, v2, 0x7fff
	v_lshrrev_b32_e32 v2, 16, v2
	s_delay_alu instid0(VALU_DEP_1) | instskip(NEXT) | instid1(VALU_DEP_1)
	v_cndmask_b32_e32 v10, 0x7fc0, v2, vcc_lo
	v_lshlrev_b32_e32 v1, 16, v10
	s_delay_alu instid0(VALU_DEP_1) | instskip(NEXT) | instid1(VALU_DEP_1)
	v_mul_f32_e32 v1, v11, v1
	v_bfe_u32 v2, v1, 16, 1
	v_cmp_o_f32_e32 vcc_lo, v1, v1
	s_delay_alu instid0(VALU_DEP_2) | instskip(NEXT) | instid1(VALU_DEP_1)
	v_add3_u32 v2, v1, v2, 0x7fff
	v_lshrrev_b32_e32 v2, 16, v2
	s_delay_alu instid0(VALU_DEP_1)
	v_cndmask_b32_e32 v17, 0x7fc0, v2, vcc_lo
.LBB6_19:                               ;   in Loop: Header=BB6_6 Depth=1
	s_or_b32 exec_lo, exec_lo, s15
	v_add_co_u32 v1, vcc_lo, s4, v8
	v_add_co_ci_u32_e32 v2, vcc_lo, s5, v9, vcc_lo
	v_add_co_u32 v8, vcc_lo, s8, v8
	v_add_co_ci_u32_e32 v9, vcc_lo, s9, v9, vcc_lo
	global_store_b16 v[1:2], v17, off
	global_store_b16 v[8:9], v10, off
.LBB6_20:                               ;   in Loop: Header=BB6_6 Depth=1
	s_or_b32 exec_lo, exec_lo, s14
	v_add_nc_u32_e32 v1, s1, v0
	s_mov_b32 s14, exec_lo
	s_delay_alu instid0(VALU_DEP_1)
	v_cmpx_gt_i32_e64 s3, v1
	s_cbranch_execz .LBB6_5
; %bb.21:                               ;   in Loop: Header=BB6_6 Depth=1
	v_ashrrev_i32_e32 v2, 31, v1
	s_mov_b32 s15, exec_lo
	s_delay_alu instid0(VALU_DEP_1) | instskip(NEXT) | instid1(VALU_DEP_1)
	v_lshlrev_b64 v[1:2], 1, v[1:2]
	v_add_co_u32 v8, vcc_lo, s6, v1
	s_delay_alu instid0(VALU_DEP_2) | instskip(SKIP_3) | instid1(VALU_DEP_1)
	v_add_co_ci_u32_e32 v9, vcc_lo, s7, v2, vcc_lo
	global_load_u16 v10, v[8:9], off
	s_waitcnt vmcnt(0)
	v_dual_mov_b32 v8, 0x3f80 :: v_dual_lshlrev_b32 v9, 16, v10
	v_cmpx_ge_f32_e32 0, v9
	s_cbranch_execz .LBB6_4
; %bb.22:                               ;   in Loop: Header=BB6_6 Depth=1
	v_lshrrev_b32_e32 v4, 11, v4
	s_delay_alu instid0(VALU_DEP_1) | instskip(SKIP_1) | instid1(VALU_DEP_2)
	v_cvt_f64_u32_e32 v[10:11], v4
	v_cvt_f64_u32_e32 v[3:4], v3
	v_ldexp_f64 v[10:11], v[10:11], 32
	s_delay_alu instid0(VALU_DEP_1) | instskip(NEXT) | instid1(VALU_DEP_1)
	v_add_f64 v[3:4], v[10:11], v[3:4]
	v_fma_f64 v[3:4], 0x3ca00000, v[3:4], 0x3ca00000
	s_delay_alu instid0(VALU_DEP_1) | instskip(NEXT) | instid1(VALU_DEP_1)
	v_cvt_f32_f64_e32 v3, v[3:4]
	v_bfe_u32 v4, v3, 16, 1
	s_delay_alu instid0(VALU_DEP_1) | instskip(NEXT) | instid1(VALU_DEP_1)
	v_add3_u32 v3, v3, v4, 0x7fff
	v_and_b32_e32 v3, 0xffff0000, v3
	s_delay_alu instid0(VALU_DEP_1) | instskip(NEXT) | instid1(VALU_DEP_1)
	v_cvt_f64_f32_e32 v[3:4], v3
	v_fma_f64 v[3:4], v[14:15], v[3:4], s[10:11]
	s_delay_alu instid0(VALU_DEP_1) | instskip(NEXT) | instid1(VALU_DEP_1)
	v_cvt_f32_f64_e32 v3, v[3:4]
	v_bfe_u32 v4, v3, 16, 1
	v_cmp_o_f32_e32 vcc_lo, v3, v3
	s_delay_alu instid0(VALU_DEP_2) | instskip(NEXT) | instid1(VALU_DEP_1)
	v_add3_u32 v4, v3, v4, 0x7fff
	v_lshrrev_b32_e32 v4, 16, v4
	s_delay_alu instid0(VALU_DEP_1) | instskip(NEXT) | instid1(VALU_DEP_1)
	v_cndmask_b32_e32 v8, 0x7fc0, v4, vcc_lo
	v_lshlrev_b32_e32 v3, 16, v8
	s_delay_alu instid0(VALU_DEP_1) | instskip(NEXT) | instid1(VALU_DEP_1)
	v_mul_f32_e32 v3, v9, v3
	v_bfe_u32 v4, v3, 16, 1
	v_cmp_o_f32_e32 vcc_lo, v3, v3
	s_delay_alu instid0(VALU_DEP_2) | instskip(NEXT) | instid1(VALU_DEP_1)
	v_add3_u32 v4, v3, v4, 0x7fff
	v_lshrrev_b32_e32 v4, 16, v4
	s_delay_alu instid0(VALU_DEP_1)
	v_cndmask_b32_e32 v10, 0x7fc0, v4, vcc_lo
	s_branch .LBB6_4
.LBB6_23:
	s_endpgm
	.section	.rodata,"a",@progbits
	.p2align	6, 0x0
	.amdhsa_kernel _ZN2at6native28rrelu_with_noise_cuda_kernelIN3c108BFloat16ELi2EZNS0_28_rrelu_with_noise_cuda_trainIS3_EEvRNS_6TensorERKS5_S6_RKNS2_6ScalarESB_St8optionalINS_9GeneratorEEEUlP25hiprandStatePhilox4_32_10E_EEviNS_15PhiloxCudaStateEPT_PKSJ_SK_ddRKT1_
		.amdhsa_group_segment_fixed_size 0
		.amdhsa_private_segment_fixed_size 0
		.amdhsa_kernarg_size 344
		.amdhsa_user_sgpr_count 15
		.amdhsa_user_sgpr_dispatch_ptr 0
		.amdhsa_user_sgpr_queue_ptr 0
		.amdhsa_user_sgpr_kernarg_segment_ptr 1
		.amdhsa_user_sgpr_dispatch_id 0
		.amdhsa_user_sgpr_private_segment_size 0
		.amdhsa_wavefront_size32 1
		.amdhsa_uses_dynamic_stack 0
		.amdhsa_enable_private_segment 0
		.amdhsa_system_sgpr_workgroup_id_x 1
		.amdhsa_system_sgpr_workgroup_id_y 0
		.amdhsa_system_sgpr_workgroup_id_z 0
		.amdhsa_system_sgpr_workgroup_info 0
		.amdhsa_system_vgpr_workitem_id 0
		.amdhsa_next_free_vgpr 43
		.amdhsa_next_free_sgpr 17
		.amdhsa_reserve_vcc 1
		.amdhsa_float_round_mode_32 0
		.amdhsa_float_round_mode_16_64 0
		.amdhsa_float_denorm_mode_32 3
		.amdhsa_float_denorm_mode_16_64 3
		.amdhsa_dx10_clamp 1
		.amdhsa_ieee_mode 1
		.amdhsa_fp16_overflow 0
		.amdhsa_workgroup_processor_mode 1
		.amdhsa_memory_ordered 1
		.amdhsa_forward_progress 0
		.amdhsa_shared_vgpr_count 0
		.amdhsa_exception_fp_ieee_invalid_op 0
		.amdhsa_exception_fp_denorm_src 0
		.amdhsa_exception_fp_ieee_div_zero 0
		.amdhsa_exception_fp_ieee_overflow 0
		.amdhsa_exception_fp_ieee_underflow 0
		.amdhsa_exception_fp_ieee_inexact 0
		.amdhsa_exception_int_div_zero 0
	.end_amdhsa_kernel
	.section	.text._ZN2at6native28rrelu_with_noise_cuda_kernelIN3c108BFloat16ELi2EZNS0_28_rrelu_with_noise_cuda_trainIS3_EEvRNS_6TensorERKS5_S6_RKNS2_6ScalarESB_St8optionalINS_9GeneratorEEEUlP25hiprandStatePhilox4_32_10E_EEviNS_15PhiloxCudaStateEPT_PKSJ_SK_ddRKT1_,"axG",@progbits,_ZN2at6native28rrelu_with_noise_cuda_kernelIN3c108BFloat16ELi2EZNS0_28_rrelu_with_noise_cuda_trainIS3_EEvRNS_6TensorERKS5_S6_RKNS2_6ScalarESB_St8optionalINS_9GeneratorEEEUlP25hiprandStatePhilox4_32_10E_EEviNS_15PhiloxCudaStateEPT_PKSJ_SK_ddRKT1_,comdat
.Lfunc_end6:
	.size	_ZN2at6native28rrelu_with_noise_cuda_kernelIN3c108BFloat16ELi2EZNS0_28_rrelu_with_noise_cuda_trainIS3_EEvRNS_6TensorERKS5_S6_RKNS2_6ScalarESB_St8optionalINS_9GeneratorEEEUlP25hiprandStatePhilox4_32_10E_EEviNS_15PhiloxCudaStateEPT_PKSJ_SK_ddRKT1_, .Lfunc_end6-_ZN2at6native28rrelu_with_noise_cuda_kernelIN3c108BFloat16ELi2EZNS0_28_rrelu_with_noise_cuda_trainIS3_EEvRNS_6TensorERKS5_S6_RKNS2_6ScalarESB_St8optionalINS_9GeneratorEEEUlP25hiprandStatePhilox4_32_10E_EEviNS_15PhiloxCudaStateEPT_PKSJ_SK_ddRKT1_
                                        ; -- End function
	.section	.AMDGPU.csdata,"",@progbits
; Kernel info:
; codeLenInByte = 2528
; NumSgprs: 19
; NumVgprs: 43
; ScratchSize: 0
; MemoryBound: 0
; FloatMode: 240
; IeeeMode: 1
; LDSByteSize: 0 bytes/workgroup (compile time only)
; SGPRBlocks: 2
; VGPRBlocks: 5
; NumSGPRsForWavesPerEU: 19
; NumVGPRsForWavesPerEU: 43
; Occupancy: 16
; WaveLimiterHint : 0
; COMPUTE_PGM_RSRC2:SCRATCH_EN: 0
; COMPUTE_PGM_RSRC2:USER_SGPR: 15
; COMPUTE_PGM_RSRC2:TRAP_HANDLER: 0
; COMPUTE_PGM_RSRC2:TGID_X_EN: 1
; COMPUTE_PGM_RSRC2:TGID_Y_EN: 0
; COMPUTE_PGM_RSRC2:TGID_Z_EN: 0
; COMPUTE_PGM_RSRC2:TIDIG_COMP_CNT: 0
	.section	.text._ZN2at6native28rrelu_with_noise_cuda_kernelIN3c108BFloat16ELi4EZNS0_28_rrelu_with_noise_cuda_trainIS3_EEvRNS_6TensorERKS5_S6_RKNS2_6ScalarESB_St8optionalINS_9GeneratorEEEUlP25hiprandStatePhilox4_32_10E0_EEviNS_15PhiloxCudaStateEPT_PKSJ_SK_ddRKT1_,"axG",@progbits,_ZN2at6native28rrelu_with_noise_cuda_kernelIN3c108BFloat16ELi4EZNS0_28_rrelu_with_noise_cuda_trainIS3_EEvRNS_6TensorERKS5_S6_RKNS2_6ScalarESB_St8optionalINS_9GeneratorEEEUlP25hiprandStatePhilox4_32_10E0_EEviNS_15PhiloxCudaStateEPT_PKSJ_SK_ddRKT1_,comdat
	.protected	_ZN2at6native28rrelu_with_noise_cuda_kernelIN3c108BFloat16ELi4EZNS0_28_rrelu_with_noise_cuda_trainIS3_EEvRNS_6TensorERKS5_S6_RKNS2_6ScalarESB_St8optionalINS_9GeneratorEEEUlP25hiprandStatePhilox4_32_10E0_EEviNS_15PhiloxCudaStateEPT_PKSJ_SK_ddRKT1_ ; -- Begin function _ZN2at6native28rrelu_with_noise_cuda_kernelIN3c108BFloat16ELi4EZNS0_28_rrelu_with_noise_cuda_trainIS3_EEvRNS_6TensorERKS5_S6_RKNS2_6ScalarESB_St8optionalINS_9GeneratorEEEUlP25hiprandStatePhilox4_32_10E0_EEviNS_15PhiloxCudaStateEPT_PKSJ_SK_ddRKT1_
	.globl	_ZN2at6native28rrelu_with_noise_cuda_kernelIN3c108BFloat16ELi4EZNS0_28_rrelu_with_noise_cuda_trainIS3_EEvRNS_6TensorERKS5_S6_RKNS2_6ScalarESB_St8optionalINS_9GeneratorEEEUlP25hiprandStatePhilox4_32_10E0_EEviNS_15PhiloxCudaStateEPT_PKSJ_SK_ddRKT1_
	.p2align	8
	.type	_ZN2at6native28rrelu_with_noise_cuda_kernelIN3c108BFloat16ELi4EZNS0_28_rrelu_with_noise_cuda_trainIS3_EEvRNS_6TensorERKS5_S6_RKNS2_6ScalarESB_St8optionalINS_9GeneratorEEEUlP25hiprandStatePhilox4_32_10E0_EEviNS_15PhiloxCudaStateEPT_PKSJ_SK_ddRKT1_,@function
_ZN2at6native28rrelu_with_noise_cuda_kernelIN3c108BFloat16ELi4EZNS0_28_rrelu_with_noise_cuda_trainIS3_EEvRNS_6TensorERKS5_S6_RKNS2_6ScalarESB_St8optionalINS_9GeneratorEEEUlP25hiprandStatePhilox4_32_10E0_EEviNS_15PhiloxCudaStateEPT_PKSJ_SK_ddRKT1_: ; @_ZN2at6native28rrelu_with_noise_cuda_kernelIN3c108BFloat16ELi4EZNS0_28_rrelu_with_noise_cuda_trainIS3_EEvRNS_6TensorERKS5_S6_RKNS2_6ScalarESB_St8optionalINS_9GeneratorEEEUlP25hiprandStatePhilox4_32_10E0_EEviNS_15PhiloxCudaStateEPT_PKSJ_SK_ddRKT1_
; %bb.0:
	s_clause 0x1
	s_load_b128 s[4:7], s[0:1], 0x8
	s_load_b32 s2, s[0:1], 0x20
	s_waitcnt lgkmcnt(0)
	v_dual_mov_b32 v1, s6 :: v_dual_mov_b32 v2, s7
	v_dual_mov_b32 v13, s5 :: v_dual_mov_b32 v12, s4
	s_bitcmp0_b32 s2, 0
	s_cbranch_scc1 .LBB7_2
; %bb.1:
	v_dual_mov_b32 v1, s6 :: v_dual_mov_b32 v2, s7
	v_dual_mov_b32 v3, s4 :: v_dual_mov_b32 v4, s5
	s_load_b64 s[2:3], s[0:1], 0x18
	flat_load_b64 v[1:2], v[1:2]
	flat_load_b64 v[12:13], v[3:4]
	s_waitcnt vmcnt(1) lgkmcnt(0)
	v_add_co_u32 v1, vcc_lo, v1, s2
	v_add_co_ci_u32_e32 v2, vcc_lo, s3, v2, vcc_lo
.LBB7_2:
	s_clause 0x2
	s_load_b32 s2, s[0:1], 0x64
	s_load_b32 s14, s[0:1], 0x58
	;; [unrolled: 1-line block ×3, first 2 shown]
	s_waitcnt lgkmcnt(0)
	s_and_b32 s16, s2, 0xffff
	s_add_i32 s7, s3, -1
	s_mul_i32 s2, s14, s16
	s_mul_i32 s12, s15, s16
	s_lshl_b32 s2, s2, 2
	s_abs_i32 s8, s7
	s_abs_i32 s4, s2
	v_add_nc_u32_e32 v18, s12, v0
	v_cvt_f32_u32_e32 v3, s4
	s_sub_i32 s6, 0, s4
	s_delay_alu instid0(VALU_DEP_1) | instskip(SKIP_2) | instid1(VALU_DEP_1)
	v_rcp_iflag_f32_e32 v3, v3
	s_waitcnt_depctr 0xfff
	v_mul_f32_e32 v3, 0x4f7ffffe, v3
	v_cvt_u32_f32_e32 v3, v3
	s_delay_alu instid0(VALU_DEP_1) | instskip(NEXT) | instid1(VALU_DEP_1)
	v_readfirstlane_b32 s5, v3
	s_mul_i32 s6, s6, s5
	s_delay_alu instid0(SALU_CYCLE_1) | instskip(NEXT) | instid1(SALU_CYCLE_1)
	s_mul_hi_u32 s6, s5, s6
	s_add_i32 s5, s5, s6
	s_xor_b32 s6, s7, s2
	s_mul_hi_u32 s5, s8, s5
	s_ashr_i32 s6, s6, 31
	s_mul_i32 s7, s5, s4
	s_delay_alu instid0(SALU_CYCLE_1)
	s_sub_i32 s7, s8, s7
	s_add_i32 s8, s5, 1
	s_sub_i32 s9, s7, s4
	s_cmp_ge_u32 s7, s4
	s_cselect_b32 s5, s8, s5
	s_cselect_b32 s7, s9, s7
	s_add_i32 s8, s5, 1
	s_cmp_ge_u32 s7, s4
	s_cselect_b32 s4, s8, s5
	s_delay_alu instid0(SALU_CYCLE_1) | instskip(NEXT) | instid1(SALU_CYCLE_1)
	s_xor_b32 s4, s4, s6
	s_sub_i32 s4, s4, s6
	s_delay_alu instid0(SALU_CYCLE_1) | instskip(NEXT) | instid1(SALU_CYCLE_1)
	s_add_i32 s4, s4, 1
	s_mul_i32 s13, s2, s4
	s_mov_b32 s4, exec_lo
	v_cmpx_gt_i32_e64 s13, v18
	s_cbranch_execz .LBB7_31
; %bb.3:
	v_alignbit_b32 v19, v2, v1, 2
	v_mad_u64_u32 v[5:6], null, 0xcd9e8d57, v18, 0
	v_lshrrev_b32_e32 v20, 2, v2
	v_ashrrev_i32_e32 v21, 31, v18
	s_delay_alu instid0(VALU_DEP_4) | instskip(SKIP_4) | instid1(VALU_DEP_4)
	v_mad_u64_u32 v[3:4], null, 0xd2511f53, v19, 0
	s_waitcnt vmcnt(0)
	v_dual_mov_b32 v10, v13 :: v_dual_add_nc_u32 v39, 0x8ff34781, v12
	v_add_co_u32 v23, null, 0x9e3779b9, v12
	v_add_co_u32 v24, null, 0x3c6ef372, v12
	v_xor_b32_e32 v2, v4, v13
	v_xor3_b32 v4, v12, v6, v20
	v_add_co_u32 v22, null, 0xbb67ae85, v10
	v_add_co_u32 v25, null, 0x76cf5d0a, v10
	s_delay_alu instid0(VALU_DEP_4) | instskip(NEXT) | instid1(VALU_DEP_4)
	v_xor_b32_e32 v2, v2, v21
	v_mad_u64_u32 v[6:7], null, 0xd2511f53, v4, 0
	v_add_co_u32 v26, null, 0x32370b8f, v10
	s_delay_alu instid0(VALU_DEP_3) | instskip(SKIP_1) | instid1(VALU_DEP_4)
	v_mad_u64_u32 v[8:9], null, 0xcd9e8d57, v2, 0
	v_add_co_u32 v27, null, 0xdaa66d2b, v12
	v_xor3_b32 v4, v22, v7, v3
	v_add_co_u32 v28, null, 0x78dde6e4, v12
	v_add_co_u32 v29, null, 0xed9eba14, v10
	v_xor3_b32 v7, v23, v9, v5
	s_delay_alu instid0(VALU_DEP_4) | instskip(SKIP_1) | instid1(VALU_DEP_3)
	v_mad_u64_u32 v[2:3], null, 0xcd9e8d57, v4, 0
	v_add_co_u32 v30, null, 0xa9066899, v10
	v_mad_u64_u32 v[4:5], null, 0xd2511f53, v7, 0
	v_add_co_u32 v31, null, 0x1715609d, v12
	s_delay_alu instid0(VALU_DEP_4) | instskip(SKIP_4) | instid1(VALU_DEP_4)
	v_xor3_b32 v3, v24, v3, v8
	s_clause 0x1
	s_load_b256 s[4:11], s[0:1], 0x28
	s_load_b64 s[0:1], s[0:1], 0x48
	v_add_co_u32 v32, null, 0xb54cda56, v12
	v_xor3_b32 v9, v25, v5, v6
	v_mad_u64_u32 v[5:6], null, 0xd2511f53, v3, 0
	v_add_co_u32 v33, null, 0x646e171e, v10
	s_delay_alu instid0(VALU_DEP_3) | instskip(SKIP_1) | instid1(VALU_DEP_4)
	v_mad_u64_u32 v[7:8], null, 0xcd9e8d57, v9, 0
	v_add_co_u32 v34, null, 0x1fd5c5a3, v10
	v_xor3_b32 v4, v26, v6, v4
	v_add_co_u32 v35, null, 0x5384540f, v12
	v_add_co_u32 v36, null, 0xf1bbcdc8, v12
	v_xor3_b32 v6, v27, v8, v2
	s_delay_alu instid0(VALU_DEP_4)
	v_mad_u64_u32 v[2:3], null, 0xcd9e8d57, v4, 0
	s_waitcnt lgkmcnt(0)
	v_add_f64 v[14:15], s[0:1], -s[10:11]
	v_add_co_u32 v37, null, 0xdb3d7428, v10
	v_mad_u64_u32 v[8:9], null, 0xd2511f53, v6, 0
	v_add_nc_u32_e32 v40, 0x96a522ad, v13
	v_xor3_b32 v6, v28, v3, v7
	s_lshl_b32 s1, s14, 1
	s_mul_i32 s17, s14, 3
	v_and_b32_e32 v38, 3, v1
	s_add_i32 s1, s15, s1
	s_delay_alu instid0(VALU_DEP_4) | instskip(SKIP_3) | instid1(VALU_DEP_2)
	v_xor3_b32 v7, v29, v9, v5
	v_mad_u64_u32 v[3:4], null, 0xd2511f53, v6, 0
	s_add_i32 s17, s15, s17
	s_add_i32 s15, s15, s14
	v_mad_u64_u32 v[5:6], null, 0xcd9e8d57, v7, 0
	s_mov_b32 s0, 0
	s_mul_i32 s1, s1, s16
	s_delay_alu instid0(VALU_DEP_2) | instskip(SKIP_2) | instid1(VALU_DEP_2)
	v_xor3_b32 v4, v30, v4, v8
	s_mul_i32 s14, s17, s16
	s_mul_i32 s15, s15, s16
	v_xor3_b32 v2, v31, v6, v2
	s_delay_alu instid0(VALU_DEP_2) | instskip(NEXT) | instid1(VALU_DEP_2)
	v_mad_u64_u32 v[6:7], null, 0xcd9e8d57, v4, 0
	v_mad_u64_u32 v[8:9], null, 0xd2511f53, v2, 0
	s_delay_alu instid0(VALU_DEP_2) | instskip(NEXT) | instid1(VALU_DEP_2)
	v_xor3_b32 v4, v32, v7, v5
	v_xor3_b32 v7, v33, v9, v3
	s_delay_alu instid0(VALU_DEP_2) | instskip(NEXT) | instid1(VALU_DEP_2)
	v_mad_u64_u32 v[2:3], null, 0xd2511f53, v4, 0
	v_mad_u64_u32 v[4:5], null, 0xcd9e8d57, v7, 0
	s_delay_alu instid0(VALU_DEP_2) | instskip(NEXT) | instid1(VALU_DEP_2)
	v_xor3_b32 v3, v34, v3, v8
	;; [unrolled: 6-line block ×3, first 2 shown]
	v_xor3_b32 v4, v37, v8, v2
	s_delay_alu instid0(VALU_DEP_2) | instskip(NEXT) | instid1(VALU_DEP_2)
	v_mad_u64_u32 v[8:9], null, 0xd2511f53, v3, 0
	v_mad_u64_u32 v[2:3], null, 0xcd9e8d57, v4, 0
	s_delay_alu instid0(VALU_DEP_2) | instskip(NEXT) | instid1(VALU_DEP_2)
	v_mov_b32_e32 v4, v8
	v_xor3_b32 v1, v3, v5, v39
	s_delay_alu instid0(VALU_DEP_4)
	v_xor3_b32 v3, v9, v7, v40
	s_branch .LBB7_6
.LBB7_4:                                ;   in Loop: Header=BB7_6 Depth=1
	s_or_b32 exec_lo, exec_lo, s17
	v_add_co_u32 v9, vcc_lo, s4, v1
	v_add_co_ci_u32_e32 v10, vcc_lo, s5, v2, vcc_lo
	v_add_co_u32 v1, vcc_lo, s8, v1
	v_add_co_ci_u32_e32 v2, vcc_lo, s9, v2, vcc_lo
	global_store_b16 v[9:10], v8, off
	global_store_b16 v[1:2], v3, off
.LBB7_5:                                ;   in Loop: Header=BB7_6 Depth=1
	s_or_b32 exec_lo, exec_lo, s16
	v_mov_b32_e32 v8, v16
	v_add_nc_u32_e32 v0, s2, v0
	s_waitcnt_vscnt null, 0x0
	s_barrier
	buffer_gl0_inv
	v_add_nc_u32_e32 v1, s12, v0
	s_delay_alu instid0(VALU_DEP_1) | instskip(SKIP_3) | instid1(SALU_CYCLE_1)
	v_cmp_le_i32_e32 vcc_lo, s13, v1
	v_dual_mov_b32 v1, v5 :: v_dual_mov_b32 v2, v6
	v_dual_mov_b32 v3, v7 :: v_dual_mov_b32 v4, v8
	s_or_b32 s0, vcc_lo, s0
	s_and_not1_b32 exec_lo, exec_lo, s0
	s_cbranch_execz .LBB7_31
.LBB7_6:                                ; =>This Inner Loop Header: Depth=1
	v_add_co_u32 v19, vcc_lo, v19, 1
	s_delay_alu instid0(VALU_DEP_1) | instskip(SKIP_2) | instid1(VALU_DEP_1)
	v_cndmask_b32_e64 v5, 0, 1, vcc_lo
	v_add_co_ci_u32_e32 v20, vcc_lo, 0, v20, vcc_lo
	s_mov_b32 s16, exec_lo
	v_cmp_eq_u32_e32 vcc_lo, 0, v20
	s_delay_alu instid0(VALU_DEP_3) | instskip(NEXT) | instid1(VALU_DEP_1)
	v_cndmask_b32_e32 v5, 0, v5, vcc_lo
	v_add_nc_u32_e32 v18, v5, v18
	s_delay_alu instid0(VALU_DEP_1) | instskip(SKIP_2) | instid1(VALU_DEP_2)
	v_cmp_eq_u32_e32 vcc_lo, 0, v18
	v_cndmask_b32_e32 v5, 0, v5, vcc_lo
	v_mad_u64_u32 v[7:8], null, 0xcd9e8d57, v18, 0
	v_add_nc_u32_e32 v21, v5, v21
	v_mad_u64_u32 v[5:6], null, 0xd2511f53, v19, 0
	s_delay_alu instid0(VALU_DEP_3) | instskip(NEXT) | instid1(VALU_DEP_2)
	v_xor3_b32 v10, v8, v12, v20
	v_xor_b32_e32 v6, v6, v13
	s_delay_alu instid0(VALU_DEP_2) | instskip(NEXT) | instid1(VALU_DEP_2)
	v_mad_u64_u32 v[8:9], null, 0xd2511f53, v10, 0
	v_xor_b32_e32 v6, v21, v6
	s_delay_alu instid0(VALU_DEP_2) | instskip(NEXT) | instid1(VALU_DEP_2)
	v_xor3_b32 v9, v22, v9, v5
	v_mad_u64_u32 v[10:11], null, 0xcd9e8d57, v6, 0
	s_delay_alu instid0(VALU_DEP_2) | instskip(NEXT) | instid1(VALU_DEP_2)
	v_mad_u64_u32 v[5:6], null, 0xcd9e8d57, v9, 0
	v_xor3_b32 v7, v23, v11, v7
	s_delay_alu instid0(VALU_DEP_2) | instskip(NEXT) | instid1(VALU_DEP_2)
	v_xor3_b32 v9, v24, v6, v10
	v_mad_u64_u32 v[16:17], null, 0xd2511f53, v7, 0
	s_delay_alu instid0(VALU_DEP_2) | instskip(NEXT) | instid1(VALU_DEP_2)
	v_mad_u64_u32 v[6:7], null, 0xd2511f53, v9, 0
	v_xor3_b32 v10, v25, v17, v8
	s_delay_alu instid0(VALU_DEP_2) | instskip(NEXT) | instid1(VALU_DEP_2)
	v_xor3_b32 v7, v26, v7, v16
	v_mad_u64_u32 v[8:9], null, 0xcd9e8d57, v10, 0
	s_delay_alu instid0(VALU_DEP_1) | instskip(NEXT) | instid1(VALU_DEP_3)
	v_xor3_b32 v5, v27, v9, v5
	v_mad_u64_u32 v[9:10], null, 0xcd9e8d57, v7, 0
	s_delay_alu instid0(VALU_DEP_2) | instskip(NEXT) | instid1(VALU_DEP_2)
	v_mad_u64_u32 v[16:17], null, 0xd2511f53, v5, 0
	v_xor3_b32 v7, v28, v10, v8
	s_delay_alu instid0(VALU_DEP_2) | instskip(NEXT) | instid1(VALU_DEP_2)
	v_xor3_b32 v10, v29, v17, v6
	v_mad_u64_u32 v[5:6], null, 0xd2511f53, v7, 0
	s_delay_alu instid0(VALU_DEP_2) | instskip(NEXT) | instid1(VALU_DEP_2)
	v_mad_u64_u32 v[7:8], null, 0xcd9e8d57, v10, 0
	v_xor3_b32 v6, v30, v6, v16
	s_delay_alu instid0(VALU_DEP_2) | instskip(NEXT) | instid1(VALU_DEP_2)
	;; [unrolled: 6-line block ×6, first 2 shown]
	v_xor3_b32 v5, v7, v8, v39
	v_mov_b32_e32 v7, v11
	v_cmpx_lt_i32_e32 1, v38
	s_xor_b32 s16, exec_lo, s16
	s_cbranch_execz .LBB7_12
; %bb.7:                                ;   in Loop: Header=BB7_6 Depth=1
	s_mov_b32 s17, exec_lo
	v_cmpx_lt_i32_e32 2, v38
	s_xor_b32 s17, exec_lo, s17
; %bb.8:                                ;   in Loop: Header=BB7_6 Depth=1
	v_dual_mov_b32 v8, v4 :: v_dual_mov_b32 v9, v5
	v_mov_b32_e32 v10, v6
	s_delay_alu instid0(VALU_DEP_2) | instskip(NEXT) | instid1(VALU_DEP_2)
	v_dual_mov_b32 v1, v8 :: v_dual_mov_b32 v2, v9
	v_dual_mov_b32 v3, v10 :: v_dual_mov_b32 v4, v11
; %bb.9:                                ;   in Loop: Header=BB7_6 Depth=1
	s_and_not1_saveexec_b32 s17, s17
; %bb.10:                               ;   in Loop: Header=BB7_6 Depth=1
	s_delay_alu instid0(VALU_DEP_1)
	v_dual_mov_b32 v1, v3 :: v_dual_mov_b32 v2, v4
	v_dual_mov_b32 v3, v5 :: v_dual_mov_b32 v4, v6
; %bb.11:                               ;   in Loop: Header=BB7_6 Depth=1
	s_or_b32 exec_lo, exec_lo, s17
.LBB7_12:                               ;   in Loop: Header=BB7_6 Depth=1
	s_and_not1_saveexec_b32 s16, s16
	s_cbranch_execz .LBB7_16
; %bb.13:                               ;   in Loop: Header=BB7_6 Depth=1
	s_mov_b32 s17, exec_lo
	v_cmpx_eq_u32_e32 1, v38
; %bb.14:                               ;   in Loop: Header=BB7_6 Depth=1
	v_dual_mov_b32 v1, v2 :: v_dual_mov_b32 v2, v3
	v_dual_mov_b32 v3, v4 :: v_dual_mov_b32 v4, v5
; %bb.15:                               ;   in Loop: Header=BB7_6 Depth=1
	s_or_b32 exec_lo, exec_lo, s17
.LBB7_16:                               ;   in Loop: Header=BB7_6 Depth=1
	s_delay_alu instid0(SALU_CYCLE_1) | instskip(SKIP_2) | instid1(VALU_DEP_1)
	s_or_b32 exec_lo, exec_lo, s16
	v_add_nc_u32_e32 v8, s12, v0
	s_mov_b32 s16, exec_lo
	v_cmpx_gt_i32_e64 s3, v8
	s_cbranch_execz .LBB7_20
; %bb.17:                               ;   in Loop: Header=BB7_6 Depth=1
	v_ashrrev_i32_e32 v9, 31, v8
	s_mov_b32 s17, exec_lo
	s_delay_alu instid0(VALU_DEP_1) | instskip(NEXT) | instid1(VALU_DEP_1)
	v_lshlrev_b64 v[8:9], 1, v[8:9]
	v_add_co_u32 v10, vcc_lo, s6, v8
	s_delay_alu instid0(VALU_DEP_2) | instskip(SKIP_3) | instid1(VALU_DEP_1)
	v_add_co_ci_u32_e32 v11, vcc_lo, s7, v9, vcc_lo
	global_load_u16 v11, v[10:11], off
	s_waitcnt vmcnt(0)
	v_dual_mov_b32 v10, 0x3f80 :: v_dual_lshlrev_b32 v17, 16, v11
	v_cmpx_ge_f32_e32 0, v17
	s_cbranch_execz .LBB7_19
; %bb.18:                               ;   in Loop: Header=BB7_6 Depth=1
	v_cvt_f32_u32_e32 v1, v1
	s_delay_alu instid0(VALU_DEP_1) | instskip(NEXT) | instid1(VALU_DEP_1)
	v_fmaak_f32 v1, 0x2f800000, v1, 0x2f800000
	v_bfe_u32 v10, v1, 16, 1
	s_delay_alu instid0(VALU_DEP_1) | instskip(NEXT) | instid1(VALU_DEP_1)
	v_add3_u32 v1, v1, v10, 0x7fff
	v_and_b32_e32 v1, 0xffff0000, v1
	s_delay_alu instid0(VALU_DEP_1) | instskip(NEXT) | instid1(VALU_DEP_1)
	v_cvt_f64_f32_e32 v[10:11], v1
	v_fma_f64 v[10:11], v[14:15], v[10:11], s[10:11]
	s_delay_alu instid0(VALU_DEP_1) | instskip(NEXT) | instid1(VALU_DEP_1)
	v_cvt_f32_f64_e32 v1, v[10:11]
	v_bfe_u32 v10, v1, 16, 1
	v_cmp_o_f32_e32 vcc_lo, v1, v1
	s_delay_alu instid0(VALU_DEP_2) | instskip(NEXT) | instid1(VALU_DEP_1)
	v_add3_u32 v10, v1, v10, 0x7fff
	v_lshrrev_b32_e32 v10, 16, v10
	s_delay_alu instid0(VALU_DEP_1) | instskip(NEXT) | instid1(VALU_DEP_1)
	v_cndmask_b32_e32 v10, 0x7fc0, v10, vcc_lo
	v_lshlrev_b32_e32 v1, 16, v10
	s_delay_alu instid0(VALU_DEP_1) | instskip(NEXT) | instid1(VALU_DEP_1)
	v_mul_f32_e32 v1, v17, v1
	v_bfe_u32 v11, v1, 16, 1
	v_cmp_o_f32_e32 vcc_lo, v1, v1
	s_delay_alu instid0(VALU_DEP_2) | instskip(NEXT) | instid1(VALU_DEP_1)
	v_add3_u32 v11, v1, v11, 0x7fff
	v_lshrrev_b32_e32 v11, 16, v11
	s_delay_alu instid0(VALU_DEP_1)
	v_cndmask_b32_e32 v11, 0x7fc0, v11, vcc_lo
.LBB7_19:                               ;   in Loop: Header=BB7_6 Depth=1
	s_or_b32 exec_lo, exec_lo, s17
	v_add_co_u32 v41, vcc_lo, s4, v8
	v_add_co_ci_u32_e32 v42, vcc_lo, s5, v9, vcc_lo
	v_add_co_u32 v8, vcc_lo, s8, v8
	v_add_co_ci_u32_e32 v9, vcc_lo, s9, v9, vcc_lo
	global_store_b16 v[41:42], v11, off
	global_store_b16 v[8:9], v10, off
.LBB7_20:                               ;   in Loop: Header=BB7_6 Depth=1
	s_or_b32 exec_lo, exec_lo, s16
	v_add_nc_u32_e32 v8, s15, v0
	s_mov_b32 s16, exec_lo
	s_delay_alu instid0(VALU_DEP_1)
	v_cmpx_gt_i32_e64 s3, v8
	s_cbranch_execz .LBB7_24
; %bb.21:                               ;   in Loop: Header=BB7_6 Depth=1
	v_ashrrev_i32_e32 v9, 31, v8
	v_mov_b32_e32 v1, 0x3f80
	s_mov_b32 s17, exec_lo
	s_delay_alu instid0(VALU_DEP_2) | instskip(NEXT) | instid1(VALU_DEP_1)
	v_lshlrev_b64 v[8:9], 1, v[8:9]
	v_add_co_u32 v10, vcc_lo, s6, v8
	s_delay_alu instid0(VALU_DEP_2) | instskip(SKIP_3) | instid1(VALU_DEP_1)
	v_add_co_ci_u32_e32 v11, vcc_lo, s7, v9, vcc_lo
	global_load_u16 v10, v[10:11], off
	s_waitcnt vmcnt(0)
	v_lshlrev_b32_e32 v11, 16, v10
	v_cmpx_ge_f32_e32 0, v11
	s_cbranch_execz .LBB7_23
; %bb.22:                               ;   in Loop: Header=BB7_6 Depth=1
	v_cvt_f32_u32_e32 v1, v2
	s_delay_alu instid0(VALU_DEP_1) | instskip(NEXT) | instid1(VALU_DEP_1)
	v_fmaak_f32 v1, 0x2f800000, v1, 0x2f800000
	v_bfe_u32 v2, v1, 16, 1
	s_delay_alu instid0(VALU_DEP_1) | instskip(NEXT) | instid1(VALU_DEP_1)
	v_add3_u32 v1, v1, v2, 0x7fff
	v_and_b32_e32 v1, 0xffff0000, v1
	s_delay_alu instid0(VALU_DEP_1) | instskip(NEXT) | instid1(VALU_DEP_1)
	v_cvt_f64_f32_e32 v[1:2], v1
	v_fma_f64 v[1:2], v[14:15], v[1:2], s[10:11]
	s_delay_alu instid0(VALU_DEP_1) | instskip(NEXT) | instid1(VALU_DEP_1)
	v_cvt_f32_f64_e32 v1, v[1:2]
	v_bfe_u32 v2, v1, 16, 1
	v_cmp_o_f32_e32 vcc_lo, v1, v1
	s_delay_alu instid0(VALU_DEP_2) | instskip(NEXT) | instid1(VALU_DEP_1)
	v_add3_u32 v2, v1, v2, 0x7fff
	v_lshrrev_b32_e32 v2, 16, v2
	s_delay_alu instid0(VALU_DEP_1) | instskip(NEXT) | instid1(VALU_DEP_1)
	v_cndmask_b32_e32 v1, 0x7fc0, v2, vcc_lo
	v_lshlrev_b32_e32 v2, 16, v1
	s_delay_alu instid0(VALU_DEP_1) | instskip(NEXT) | instid1(VALU_DEP_1)
	v_mul_f32_e32 v2, v11, v2
	v_bfe_u32 v10, v2, 16, 1
	v_cmp_o_f32_e32 vcc_lo, v2, v2
	s_delay_alu instid0(VALU_DEP_2) | instskip(NEXT) | instid1(VALU_DEP_1)
	v_add3_u32 v10, v2, v10, 0x7fff
	v_lshrrev_b32_e32 v10, 16, v10
	s_delay_alu instid0(VALU_DEP_1)
	v_cndmask_b32_e32 v10, 0x7fc0, v10, vcc_lo
.LBB7_23:                               ;   in Loop: Header=BB7_6 Depth=1
	s_or_b32 exec_lo, exec_lo, s17
	v_add_co_u32 v41, vcc_lo, s4, v8
	v_add_co_ci_u32_e32 v42, vcc_lo, s5, v9, vcc_lo
	v_add_co_u32 v8, vcc_lo, s8, v8
	v_add_co_ci_u32_e32 v9, vcc_lo, s9, v9, vcc_lo
	global_store_b16 v[41:42], v10, off
	global_store_b16 v[8:9], v1, off
.LBB7_24:                               ;   in Loop: Header=BB7_6 Depth=1
	s_or_b32 exec_lo, exec_lo, s16
	v_add_nc_u32_e32 v1, s1, v0
	s_mov_b32 s16, exec_lo
	s_delay_alu instid0(VALU_DEP_1)
	v_cmpx_gt_i32_e64 s3, v1
	s_cbranch_execz .LBB7_28
; %bb.25:                               ;   in Loop: Header=BB7_6 Depth=1
	v_ashrrev_i32_e32 v2, 31, v1
	s_mov_b32 s17, exec_lo
	s_delay_alu instid0(VALU_DEP_1) | instskip(NEXT) | instid1(VALU_DEP_1)
	v_lshlrev_b64 v[1:2], 1, v[1:2]
	v_add_co_u32 v8, vcc_lo, s6, v1
	s_delay_alu instid0(VALU_DEP_2) | instskip(SKIP_4) | instid1(VALU_DEP_1)
	v_add_co_ci_u32_e32 v9, vcc_lo, s7, v2, vcc_lo
	global_load_u16 v9, v[8:9], off
	v_mov_b32_e32 v8, 0x3f80
	s_waitcnt vmcnt(0)
	v_lshlrev_b32_e32 v10, 16, v9
	v_cmpx_ge_f32_e32 0, v10
	s_cbranch_execz .LBB7_27
; %bb.26:                               ;   in Loop: Header=BB7_6 Depth=1
	v_cvt_f32_u32_e32 v3, v3
	s_delay_alu instid0(VALU_DEP_1) | instskip(NEXT) | instid1(VALU_DEP_1)
	v_fmaak_f32 v3, 0x2f800000, v3, 0x2f800000
	v_bfe_u32 v8, v3, 16, 1
	s_delay_alu instid0(VALU_DEP_1) | instskip(NEXT) | instid1(VALU_DEP_1)
	v_add3_u32 v3, v3, v8, 0x7fff
	v_and_b32_e32 v3, 0xffff0000, v3
	s_delay_alu instid0(VALU_DEP_1) | instskip(NEXT) | instid1(VALU_DEP_1)
	v_cvt_f64_f32_e32 v[8:9], v3
	v_fma_f64 v[8:9], v[14:15], v[8:9], s[10:11]
	s_delay_alu instid0(VALU_DEP_1) | instskip(NEXT) | instid1(VALU_DEP_1)
	v_cvt_f32_f64_e32 v3, v[8:9]
	v_bfe_u32 v8, v3, 16, 1
	v_cmp_o_f32_e32 vcc_lo, v3, v3
	s_delay_alu instid0(VALU_DEP_2) | instskip(NEXT) | instid1(VALU_DEP_1)
	v_add3_u32 v8, v3, v8, 0x7fff
	v_lshrrev_b32_e32 v8, 16, v8
	s_delay_alu instid0(VALU_DEP_1) | instskip(NEXT) | instid1(VALU_DEP_1)
	v_cndmask_b32_e32 v8, 0x7fc0, v8, vcc_lo
	v_lshlrev_b32_e32 v3, 16, v8
	s_delay_alu instid0(VALU_DEP_1) | instskip(NEXT) | instid1(VALU_DEP_1)
	v_mul_f32_e32 v3, v10, v3
	v_bfe_u32 v9, v3, 16, 1
	v_cmp_o_f32_e32 vcc_lo, v3, v3
	s_delay_alu instid0(VALU_DEP_2) | instskip(NEXT) | instid1(VALU_DEP_1)
	v_add3_u32 v9, v3, v9, 0x7fff
	v_lshrrev_b32_e32 v9, 16, v9
	s_delay_alu instid0(VALU_DEP_1)
	v_cndmask_b32_e32 v9, 0x7fc0, v9, vcc_lo
.LBB7_27:                               ;   in Loop: Header=BB7_6 Depth=1
	s_or_b32 exec_lo, exec_lo, s17
	v_add_co_u32 v10, vcc_lo, s4, v1
	v_add_co_ci_u32_e32 v11, vcc_lo, s5, v2, vcc_lo
	v_add_co_u32 v1, vcc_lo, s8, v1
	v_add_co_ci_u32_e32 v2, vcc_lo, s9, v2, vcc_lo
	global_store_b16 v[10:11], v9, off
	global_store_b16 v[1:2], v8, off
.LBB7_28:                               ;   in Loop: Header=BB7_6 Depth=1
	s_or_b32 exec_lo, exec_lo, s16
	v_add_nc_u32_e32 v1, s14, v0
	s_mov_b32 s16, exec_lo
	s_delay_alu instid0(VALU_DEP_1)
	v_cmpx_gt_i32_e64 s3, v1
	s_cbranch_execz .LBB7_5
; %bb.29:                               ;   in Loop: Header=BB7_6 Depth=1
	v_ashrrev_i32_e32 v2, 31, v1
	v_mov_b32_e32 v3, 0x3f80
	s_mov_b32 s17, exec_lo
	s_delay_alu instid0(VALU_DEP_2) | instskip(NEXT) | instid1(VALU_DEP_1)
	v_lshlrev_b64 v[1:2], 1, v[1:2]
	v_add_co_u32 v8, vcc_lo, s6, v1
	s_delay_alu instid0(VALU_DEP_2) | instskip(SKIP_3) | instid1(VALU_DEP_1)
	v_add_co_ci_u32_e32 v9, vcc_lo, s7, v2, vcc_lo
	global_load_u16 v8, v[8:9], off
	s_waitcnt vmcnt(0)
	v_lshlrev_b32_e32 v9, 16, v8
	v_cmpx_ge_f32_e32 0, v9
	s_cbranch_execz .LBB7_4
; %bb.30:                               ;   in Loop: Header=BB7_6 Depth=1
	v_cvt_f32_u32_e32 v3, v4
	s_delay_alu instid0(VALU_DEP_1) | instskip(NEXT) | instid1(VALU_DEP_1)
	v_fmaak_f32 v3, 0x2f800000, v3, 0x2f800000
	v_bfe_u32 v4, v3, 16, 1
	s_delay_alu instid0(VALU_DEP_1) | instskip(NEXT) | instid1(VALU_DEP_1)
	v_add3_u32 v3, v3, v4, 0x7fff
	v_and_b32_e32 v3, 0xffff0000, v3
	s_delay_alu instid0(VALU_DEP_1) | instskip(NEXT) | instid1(VALU_DEP_1)
	v_cvt_f64_f32_e32 v[3:4], v3
	v_fma_f64 v[3:4], v[14:15], v[3:4], s[10:11]
	s_delay_alu instid0(VALU_DEP_1) | instskip(NEXT) | instid1(VALU_DEP_1)
	v_cvt_f32_f64_e32 v3, v[3:4]
	v_bfe_u32 v4, v3, 16, 1
	v_cmp_o_f32_e32 vcc_lo, v3, v3
	s_delay_alu instid0(VALU_DEP_2) | instskip(NEXT) | instid1(VALU_DEP_1)
	v_add3_u32 v4, v3, v4, 0x7fff
	v_lshrrev_b32_e32 v4, 16, v4
	s_delay_alu instid0(VALU_DEP_1) | instskip(NEXT) | instid1(VALU_DEP_1)
	v_cndmask_b32_e32 v3, 0x7fc0, v4, vcc_lo
	v_lshlrev_b32_e32 v4, 16, v3
	s_delay_alu instid0(VALU_DEP_1) | instskip(NEXT) | instid1(VALU_DEP_1)
	v_mul_f32_e32 v4, v9, v4
	v_bfe_u32 v8, v4, 16, 1
	v_cmp_o_f32_e32 vcc_lo, v4, v4
	s_delay_alu instid0(VALU_DEP_2) | instskip(NEXT) | instid1(VALU_DEP_1)
	v_add3_u32 v8, v4, v8, 0x7fff
	v_lshrrev_b32_e32 v8, 16, v8
	s_delay_alu instid0(VALU_DEP_1)
	v_cndmask_b32_e32 v8, 0x7fc0, v8, vcc_lo
	s_branch .LBB7_4
.LBB7_31:
	s_endpgm
	.section	.rodata,"a",@progbits
	.p2align	6, 0x0
	.amdhsa_kernel _ZN2at6native28rrelu_with_noise_cuda_kernelIN3c108BFloat16ELi4EZNS0_28_rrelu_with_noise_cuda_trainIS3_EEvRNS_6TensorERKS5_S6_RKNS2_6ScalarESB_St8optionalINS_9GeneratorEEEUlP25hiprandStatePhilox4_32_10E0_EEviNS_15PhiloxCudaStateEPT_PKSJ_SK_ddRKT1_
		.amdhsa_group_segment_fixed_size 0
		.amdhsa_private_segment_fixed_size 0
		.amdhsa_kernarg_size 344
		.amdhsa_user_sgpr_count 15
		.amdhsa_user_sgpr_dispatch_ptr 0
		.amdhsa_user_sgpr_queue_ptr 0
		.amdhsa_user_sgpr_kernarg_segment_ptr 1
		.amdhsa_user_sgpr_dispatch_id 0
		.amdhsa_user_sgpr_private_segment_size 0
		.amdhsa_wavefront_size32 1
		.amdhsa_uses_dynamic_stack 0
		.amdhsa_enable_private_segment 0
		.amdhsa_system_sgpr_workgroup_id_x 1
		.amdhsa_system_sgpr_workgroup_id_y 0
		.amdhsa_system_sgpr_workgroup_id_z 0
		.amdhsa_system_sgpr_workgroup_info 0
		.amdhsa_system_vgpr_workitem_id 0
		.amdhsa_next_free_vgpr 43
		.amdhsa_next_free_sgpr 18
		.amdhsa_reserve_vcc 1
		.amdhsa_float_round_mode_32 0
		.amdhsa_float_round_mode_16_64 0
		.amdhsa_float_denorm_mode_32 3
		.amdhsa_float_denorm_mode_16_64 3
		.amdhsa_dx10_clamp 1
		.amdhsa_ieee_mode 1
		.amdhsa_fp16_overflow 0
		.amdhsa_workgroup_processor_mode 1
		.amdhsa_memory_ordered 1
		.amdhsa_forward_progress 0
		.amdhsa_shared_vgpr_count 0
		.amdhsa_exception_fp_ieee_invalid_op 0
		.amdhsa_exception_fp_denorm_src 0
		.amdhsa_exception_fp_ieee_div_zero 0
		.amdhsa_exception_fp_ieee_overflow 0
		.amdhsa_exception_fp_ieee_underflow 0
		.amdhsa_exception_fp_ieee_inexact 0
		.amdhsa_exception_int_div_zero 0
	.end_amdhsa_kernel
	.section	.text._ZN2at6native28rrelu_with_noise_cuda_kernelIN3c108BFloat16ELi4EZNS0_28_rrelu_with_noise_cuda_trainIS3_EEvRNS_6TensorERKS5_S6_RKNS2_6ScalarESB_St8optionalINS_9GeneratorEEEUlP25hiprandStatePhilox4_32_10E0_EEviNS_15PhiloxCudaStateEPT_PKSJ_SK_ddRKT1_,"axG",@progbits,_ZN2at6native28rrelu_with_noise_cuda_kernelIN3c108BFloat16ELi4EZNS0_28_rrelu_with_noise_cuda_trainIS3_EEvRNS_6TensorERKS5_S6_RKNS2_6ScalarESB_St8optionalINS_9GeneratorEEEUlP25hiprandStatePhilox4_32_10E0_EEviNS_15PhiloxCudaStateEPT_PKSJ_SK_ddRKT1_,comdat
.Lfunc_end7:
	.size	_ZN2at6native28rrelu_with_noise_cuda_kernelIN3c108BFloat16ELi4EZNS0_28_rrelu_with_noise_cuda_trainIS3_EEvRNS_6TensorERKS5_S6_RKNS2_6ScalarESB_St8optionalINS_9GeneratorEEEUlP25hiprandStatePhilox4_32_10E0_EEviNS_15PhiloxCudaStateEPT_PKSJ_SK_ddRKT1_, .Lfunc_end7-_ZN2at6native28rrelu_with_noise_cuda_kernelIN3c108BFloat16ELi4EZNS0_28_rrelu_with_noise_cuda_trainIS3_EEvRNS_6TensorERKS5_S6_RKNS2_6ScalarESB_St8optionalINS_9GeneratorEEEUlP25hiprandStatePhilox4_32_10E0_EEviNS_15PhiloxCudaStateEPT_PKSJ_SK_ddRKT1_
                                        ; -- End function
	.section	.AMDGPU.csdata,"",@progbits
; Kernel info:
; codeLenInByte = 3096
; NumSgprs: 20
; NumVgprs: 43
; ScratchSize: 0
; MemoryBound: 0
; FloatMode: 240
; IeeeMode: 1
; LDSByteSize: 0 bytes/workgroup (compile time only)
; SGPRBlocks: 2
; VGPRBlocks: 5
; NumSGPRsForWavesPerEU: 20
; NumVGPRsForWavesPerEU: 43
; Occupancy: 16
; WaveLimiterHint : 0
; COMPUTE_PGM_RSRC2:SCRATCH_EN: 0
; COMPUTE_PGM_RSRC2:USER_SGPR: 15
; COMPUTE_PGM_RSRC2:TRAP_HANDLER: 0
; COMPUTE_PGM_RSRC2:TGID_X_EN: 1
; COMPUTE_PGM_RSRC2:TGID_Y_EN: 0
; COMPUTE_PGM_RSRC2:TGID_Z_EN: 0
; COMPUTE_PGM_RSRC2:TIDIG_COMP_CNT: 0
	.text
	.p2alignl 7, 3214868480
	.fill 96, 4, 3214868480
	.type	__hip_cuid_21da738c660812c8,@object ; @__hip_cuid_21da738c660812c8
	.section	.bss,"aw",@nobits
	.globl	__hip_cuid_21da738c660812c8
__hip_cuid_21da738c660812c8:
	.byte	0                               ; 0x0
	.size	__hip_cuid_21da738c660812c8, 1

	.ident	"AMD clang version 19.0.0git (https://github.com/RadeonOpenCompute/llvm-project roc-6.4.0 25133 c7fe45cf4b819c5991fe208aaa96edf142730f1d)"
	.section	".note.GNU-stack","",@progbits
	.addrsig
	.addrsig_sym __hip_cuid_21da738c660812c8
	.amdgpu_metadata
---
amdhsa.kernels:
  - .args:
      - .offset:         0
        .size:           4
        .value_kind:     by_value
      - .offset:         8
        .size:           32
        .value_kind:     by_value
      - .address_space:  global
        .offset:         40
        .size:           8
        .value_kind:     global_buffer
      - .address_space:  global
        .offset:         48
        .size:           8
        .value_kind:     global_buffer
      - .address_space:  global
        .offset:         56
        .size:           8
        .value_kind:     global_buffer
      - .offset:         64
        .size:           8
        .value_kind:     by_value
      - .offset:         72
        .size:           8
        .value_kind:     by_value
      - .address_space:  global
        .offset:         80
        .size:           8
        .value_kind:     global_buffer
      - .offset:         88
        .size:           4
        .value_kind:     hidden_block_count_x
      - .offset:         92
        .size:           4
        .value_kind:     hidden_block_count_y
      - .offset:         96
        .size:           4
        .value_kind:     hidden_block_count_z
      - .offset:         100
        .size:           2
        .value_kind:     hidden_group_size_x
      - .offset:         102
        .size:           2
        .value_kind:     hidden_group_size_y
      - .offset:         104
        .size:           2
        .value_kind:     hidden_group_size_z
      - .offset:         106
        .size:           2
        .value_kind:     hidden_remainder_x
      - .offset:         108
        .size:           2
        .value_kind:     hidden_remainder_y
      - .offset:         110
        .size:           2
        .value_kind:     hidden_remainder_z
      - .offset:         128
        .size:           8
        .value_kind:     hidden_global_offset_x
      - .offset:         136
        .size:           8
        .value_kind:     hidden_global_offset_y
      - .offset:         144
        .size:           8
        .value_kind:     hidden_global_offset_z
      - .offset:         152
        .size:           2
        .value_kind:     hidden_grid_dims
    .group_segment_fixed_size: 0
    .kernarg_segment_align: 8
    .kernarg_segment_size: 344
    .language:       OpenCL C
    .language_version:
      - 2
      - 0
    .max_flat_workgroup_size: 256
    .name:           _ZN2at6native28rrelu_with_noise_cuda_kernelIdLi2EZNS0_28_rrelu_with_noise_cuda_trainIdEEvRNS_6TensorERKS3_S4_RKN3c106ScalarESA_St8optionalINS_9GeneratorEEEUlP25hiprandStatePhilox4_32_10E_EEviNS_15PhiloxCudaStateEPT_PKSI_SJ_ddRKT1_
    .private_segment_fixed_size: 0
    .sgpr_count:     19
    .sgpr_spill_count: 0
    .symbol:         _ZN2at6native28rrelu_with_noise_cuda_kernelIdLi2EZNS0_28_rrelu_with_noise_cuda_trainIdEEvRNS_6TensorERKS3_S4_RKN3c106ScalarESA_St8optionalINS_9GeneratorEEEUlP25hiprandStatePhilox4_32_10E_EEviNS_15PhiloxCudaStateEPT_PKSI_SJ_ddRKT1_.kd
    .uniform_work_group_size: 1
    .uses_dynamic_stack: false
    .vgpr_count:     42
    .vgpr_spill_count: 0
    .wavefront_size: 32
    .workgroup_processor_mode: 1
  - .args:
      - .offset:         0
        .size:           4
        .value_kind:     by_value
      - .offset:         8
        .size:           32
        .value_kind:     by_value
      - .address_space:  global
        .offset:         40
        .size:           8
        .value_kind:     global_buffer
      - .address_space:  global
        .offset:         48
        .size:           8
        .value_kind:     global_buffer
      - .address_space:  global
        .offset:         56
        .size:           8
        .value_kind:     global_buffer
      - .offset:         64
        .size:           8
        .value_kind:     by_value
      - .offset:         72
        .size:           8
        .value_kind:     by_value
      - .address_space:  global
        .offset:         80
        .size:           8
        .value_kind:     global_buffer
      - .offset:         88
        .size:           4
        .value_kind:     hidden_block_count_x
      - .offset:         92
        .size:           4
        .value_kind:     hidden_block_count_y
      - .offset:         96
        .size:           4
        .value_kind:     hidden_block_count_z
      - .offset:         100
        .size:           2
        .value_kind:     hidden_group_size_x
      - .offset:         102
        .size:           2
        .value_kind:     hidden_group_size_y
      - .offset:         104
        .size:           2
        .value_kind:     hidden_group_size_z
      - .offset:         106
        .size:           2
        .value_kind:     hidden_remainder_x
      - .offset:         108
        .size:           2
        .value_kind:     hidden_remainder_y
      - .offset:         110
        .size:           2
        .value_kind:     hidden_remainder_z
      - .offset:         128
        .size:           8
        .value_kind:     hidden_global_offset_x
      - .offset:         136
        .size:           8
        .value_kind:     hidden_global_offset_y
      - .offset:         144
        .size:           8
        .value_kind:     hidden_global_offset_z
      - .offset:         152
        .size:           2
        .value_kind:     hidden_grid_dims
    .group_segment_fixed_size: 0
    .kernarg_segment_align: 8
    .kernarg_segment_size: 344
    .language:       OpenCL C
    .language_version:
      - 2
      - 0
    .max_flat_workgroup_size: 256
    .name:           _ZN2at6native28rrelu_with_noise_cuda_kernelIdLi4EZNS0_28_rrelu_with_noise_cuda_trainIdEEvRNS_6TensorERKS3_S4_RKN3c106ScalarESA_St8optionalINS_9GeneratorEEEUlP25hiprandStatePhilox4_32_10E0_EEviNS_15PhiloxCudaStateEPT_PKSI_SJ_ddRKT1_
    .private_segment_fixed_size: 0
    .sgpr_count:     20
    .sgpr_spill_count: 0
    .symbol:         _ZN2at6native28rrelu_with_noise_cuda_kernelIdLi4EZNS0_28_rrelu_with_noise_cuda_trainIdEEvRNS_6TensorERKS3_S4_RKN3c106ScalarESA_St8optionalINS_9GeneratorEEEUlP25hiprandStatePhilox4_32_10E0_EEviNS_15PhiloxCudaStateEPT_PKSI_SJ_ddRKT1_.kd
    .uniform_work_group_size: 1
    .uses_dynamic_stack: false
    .vgpr_count:     44
    .vgpr_spill_count: 0
    .wavefront_size: 32
    .workgroup_processor_mode: 1
  - .args:
      - .offset:         0
        .size:           4
        .value_kind:     by_value
      - .offset:         8
        .size:           32
        .value_kind:     by_value
      - .address_space:  global
        .offset:         40
        .size:           8
        .value_kind:     global_buffer
      - .address_space:  global
        .offset:         48
        .size:           8
        .value_kind:     global_buffer
      - .address_space:  global
        .offset:         56
        .size:           8
        .value_kind:     global_buffer
      - .offset:         64
        .size:           8
        .value_kind:     by_value
      - .offset:         72
        .size:           8
        .value_kind:     by_value
      - .address_space:  global
        .offset:         80
        .size:           8
        .value_kind:     global_buffer
      - .offset:         88
        .size:           4
        .value_kind:     hidden_block_count_x
      - .offset:         92
        .size:           4
        .value_kind:     hidden_block_count_y
      - .offset:         96
        .size:           4
        .value_kind:     hidden_block_count_z
      - .offset:         100
        .size:           2
        .value_kind:     hidden_group_size_x
      - .offset:         102
        .size:           2
        .value_kind:     hidden_group_size_y
      - .offset:         104
        .size:           2
        .value_kind:     hidden_group_size_z
      - .offset:         106
        .size:           2
        .value_kind:     hidden_remainder_x
      - .offset:         108
        .size:           2
        .value_kind:     hidden_remainder_y
      - .offset:         110
        .size:           2
        .value_kind:     hidden_remainder_z
      - .offset:         128
        .size:           8
        .value_kind:     hidden_global_offset_x
      - .offset:         136
        .size:           8
        .value_kind:     hidden_global_offset_y
      - .offset:         144
        .size:           8
        .value_kind:     hidden_global_offset_z
      - .offset:         152
        .size:           2
        .value_kind:     hidden_grid_dims
    .group_segment_fixed_size: 0
    .kernarg_segment_align: 8
    .kernarg_segment_size: 344
    .language:       OpenCL C
    .language_version:
      - 2
      - 0
    .max_flat_workgroup_size: 256
    .name:           _ZN2at6native28rrelu_with_noise_cuda_kernelIfLi2EZNS0_28_rrelu_with_noise_cuda_trainIfEEvRNS_6TensorERKS3_S4_RKN3c106ScalarESA_St8optionalINS_9GeneratorEEEUlP25hiprandStatePhilox4_32_10E_EEviNS_15PhiloxCudaStateEPT_PKSI_SJ_ddRKT1_
    .private_segment_fixed_size: 0
    .sgpr_count:     19
    .sgpr_spill_count: 0
    .symbol:         _ZN2at6native28rrelu_with_noise_cuda_kernelIfLi2EZNS0_28_rrelu_with_noise_cuda_trainIfEEvRNS_6TensorERKS3_S4_RKN3c106ScalarESA_St8optionalINS_9GeneratorEEEUlP25hiprandStatePhilox4_32_10E_EEviNS_15PhiloxCudaStateEPT_PKSI_SJ_ddRKT1_.kd
    .uniform_work_group_size: 1
    .uses_dynamic_stack: false
    .vgpr_count:     43
    .vgpr_spill_count: 0
    .wavefront_size: 32
    .workgroup_processor_mode: 1
  - .args:
      - .offset:         0
        .size:           4
        .value_kind:     by_value
      - .offset:         8
        .size:           32
        .value_kind:     by_value
      - .address_space:  global
        .offset:         40
        .size:           8
        .value_kind:     global_buffer
      - .address_space:  global
        .offset:         48
        .size:           8
        .value_kind:     global_buffer
      - .address_space:  global
        .offset:         56
        .size:           8
        .value_kind:     global_buffer
      - .offset:         64
        .size:           8
        .value_kind:     by_value
      - .offset:         72
        .size:           8
        .value_kind:     by_value
      - .address_space:  global
        .offset:         80
        .size:           8
        .value_kind:     global_buffer
      - .offset:         88
        .size:           4
        .value_kind:     hidden_block_count_x
      - .offset:         92
        .size:           4
        .value_kind:     hidden_block_count_y
      - .offset:         96
        .size:           4
        .value_kind:     hidden_block_count_z
      - .offset:         100
        .size:           2
        .value_kind:     hidden_group_size_x
      - .offset:         102
        .size:           2
        .value_kind:     hidden_group_size_y
      - .offset:         104
        .size:           2
        .value_kind:     hidden_group_size_z
      - .offset:         106
        .size:           2
        .value_kind:     hidden_remainder_x
      - .offset:         108
        .size:           2
        .value_kind:     hidden_remainder_y
      - .offset:         110
        .size:           2
        .value_kind:     hidden_remainder_z
      - .offset:         128
        .size:           8
        .value_kind:     hidden_global_offset_x
      - .offset:         136
        .size:           8
        .value_kind:     hidden_global_offset_y
      - .offset:         144
        .size:           8
        .value_kind:     hidden_global_offset_z
      - .offset:         152
        .size:           2
        .value_kind:     hidden_grid_dims
    .group_segment_fixed_size: 0
    .kernarg_segment_align: 8
    .kernarg_segment_size: 344
    .language:       OpenCL C
    .language_version:
      - 2
      - 0
    .max_flat_workgroup_size: 256
    .name:           _ZN2at6native28rrelu_with_noise_cuda_kernelIfLi4EZNS0_28_rrelu_with_noise_cuda_trainIfEEvRNS_6TensorERKS3_S4_RKN3c106ScalarESA_St8optionalINS_9GeneratorEEEUlP25hiprandStatePhilox4_32_10E0_EEviNS_15PhiloxCudaStateEPT_PKSI_SJ_ddRKT1_
    .private_segment_fixed_size: 0
    .sgpr_count:     20
    .sgpr_spill_count: 0
    .symbol:         _ZN2at6native28rrelu_with_noise_cuda_kernelIfLi4EZNS0_28_rrelu_with_noise_cuda_trainIfEEvRNS_6TensorERKS3_S4_RKN3c106ScalarESA_St8optionalINS_9GeneratorEEEUlP25hiprandStatePhilox4_32_10E0_EEviNS_15PhiloxCudaStateEPT_PKSI_SJ_ddRKT1_.kd
    .uniform_work_group_size: 1
    .uses_dynamic_stack: false
    .vgpr_count:     43
    .vgpr_spill_count: 0
    .wavefront_size: 32
    .workgroup_processor_mode: 1
  - .args:
      - .offset:         0
        .size:           4
        .value_kind:     by_value
      - .offset:         8
        .size:           32
        .value_kind:     by_value
      - .address_space:  global
        .offset:         40
        .size:           8
        .value_kind:     global_buffer
      - .address_space:  global
        .offset:         48
        .size:           8
        .value_kind:     global_buffer
      - .address_space:  global
        .offset:         56
        .size:           8
        .value_kind:     global_buffer
      - .offset:         64
        .size:           8
        .value_kind:     by_value
      - .offset:         72
        .size:           8
        .value_kind:     by_value
      - .address_space:  global
        .offset:         80
        .size:           8
        .value_kind:     global_buffer
      - .offset:         88
        .size:           4
        .value_kind:     hidden_block_count_x
      - .offset:         92
        .size:           4
        .value_kind:     hidden_block_count_y
      - .offset:         96
        .size:           4
        .value_kind:     hidden_block_count_z
      - .offset:         100
        .size:           2
        .value_kind:     hidden_group_size_x
      - .offset:         102
        .size:           2
        .value_kind:     hidden_group_size_y
      - .offset:         104
        .size:           2
        .value_kind:     hidden_group_size_z
      - .offset:         106
        .size:           2
        .value_kind:     hidden_remainder_x
      - .offset:         108
        .size:           2
        .value_kind:     hidden_remainder_y
      - .offset:         110
        .size:           2
        .value_kind:     hidden_remainder_z
      - .offset:         128
        .size:           8
        .value_kind:     hidden_global_offset_x
      - .offset:         136
        .size:           8
        .value_kind:     hidden_global_offset_y
      - .offset:         144
        .size:           8
        .value_kind:     hidden_global_offset_z
      - .offset:         152
        .size:           2
        .value_kind:     hidden_grid_dims
    .group_segment_fixed_size: 0
    .kernarg_segment_align: 8
    .kernarg_segment_size: 344
    .language:       OpenCL C
    .language_version:
      - 2
      - 0
    .max_flat_workgroup_size: 256
    .name:           _ZN2at6native28rrelu_with_noise_cuda_kernelIN3c104HalfELi2EZNS0_28_rrelu_with_noise_cuda_trainIS3_EEvRNS_6TensorERKS5_S6_RKNS2_6ScalarESB_St8optionalINS_9GeneratorEEEUlP25hiprandStatePhilox4_32_10E_EEviNS_15PhiloxCudaStateEPT_PKSJ_SK_ddRKT1_
    .private_segment_fixed_size: 0
    .sgpr_count:     19
    .sgpr_spill_count: 0
    .symbol:         _ZN2at6native28rrelu_with_noise_cuda_kernelIN3c104HalfELi2EZNS0_28_rrelu_with_noise_cuda_trainIS3_EEvRNS_6TensorERKS5_S6_RKNS2_6ScalarESB_St8optionalINS_9GeneratorEEEUlP25hiprandStatePhilox4_32_10E_EEviNS_15PhiloxCudaStateEPT_PKSJ_SK_ddRKT1_.kd
    .uniform_work_group_size: 1
    .uses_dynamic_stack: false
    .vgpr_count:     44
    .vgpr_spill_count: 0
    .wavefront_size: 32
    .workgroup_processor_mode: 1
  - .args:
      - .offset:         0
        .size:           4
        .value_kind:     by_value
      - .offset:         8
        .size:           32
        .value_kind:     by_value
      - .address_space:  global
        .offset:         40
        .size:           8
        .value_kind:     global_buffer
      - .address_space:  global
        .offset:         48
        .size:           8
        .value_kind:     global_buffer
      - .address_space:  global
        .offset:         56
        .size:           8
        .value_kind:     global_buffer
      - .offset:         64
        .size:           8
        .value_kind:     by_value
      - .offset:         72
        .size:           8
        .value_kind:     by_value
      - .address_space:  global
        .offset:         80
        .size:           8
        .value_kind:     global_buffer
      - .offset:         88
        .size:           4
        .value_kind:     hidden_block_count_x
      - .offset:         92
        .size:           4
        .value_kind:     hidden_block_count_y
      - .offset:         96
        .size:           4
        .value_kind:     hidden_block_count_z
      - .offset:         100
        .size:           2
        .value_kind:     hidden_group_size_x
      - .offset:         102
        .size:           2
        .value_kind:     hidden_group_size_y
      - .offset:         104
        .size:           2
        .value_kind:     hidden_group_size_z
      - .offset:         106
        .size:           2
        .value_kind:     hidden_remainder_x
      - .offset:         108
        .size:           2
        .value_kind:     hidden_remainder_y
      - .offset:         110
        .size:           2
        .value_kind:     hidden_remainder_z
      - .offset:         128
        .size:           8
        .value_kind:     hidden_global_offset_x
      - .offset:         136
        .size:           8
        .value_kind:     hidden_global_offset_y
      - .offset:         144
        .size:           8
        .value_kind:     hidden_global_offset_z
      - .offset:         152
        .size:           2
        .value_kind:     hidden_grid_dims
    .group_segment_fixed_size: 0
    .kernarg_segment_align: 8
    .kernarg_segment_size: 344
    .language:       OpenCL C
    .language_version:
      - 2
      - 0
    .max_flat_workgroup_size: 256
    .name:           _ZN2at6native28rrelu_with_noise_cuda_kernelIN3c104HalfELi4EZNS0_28_rrelu_with_noise_cuda_trainIS3_EEvRNS_6TensorERKS5_S6_RKNS2_6ScalarESB_St8optionalINS_9GeneratorEEEUlP25hiprandStatePhilox4_32_10E0_EEviNS_15PhiloxCudaStateEPT_PKSJ_SK_ddRKT1_
    .private_segment_fixed_size: 0
    .sgpr_count:     21
    .sgpr_spill_count: 0
    .symbol:         _ZN2at6native28rrelu_with_noise_cuda_kernelIN3c104HalfELi4EZNS0_28_rrelu_with_noise_cuda_trainIS3_EEvRNS_6TensorERKS5_S6_RKNS2_6ScalarESB_St8optionalINS_9GeneratorEEEUlP25hiprandStatePhilox4_32_10E0_EEviNS_15PhiloxCudaStateEPT_PKSJ_SK_ddRKT1_.kd
    .uniform_work_group_size: 1
    .uses_dynamic_stack: false
    .vgpr_count:     44
    .vgpr_spill_count: 0
    .wavefront_size: 32
    .workgroup_processor_mode: 1
  - .args:
      - .offset:         0
        .size:           4
        .value_kind:     by_value
      - .offset:         8
        .size:           32
        .value_kind:     by_value
      - .address_space:  global
        .offset:         40
        .size:           8
        .value_kind:     global_buffer
      - .address_space:  global
        .offset:         48
        .size:           8
        .value_kind:     global_buffer
      - .address_space:  global
        .offset:         56
        .size:           8
        .value_kind:     global_buffer
      - .offset:         64
        .size:           8
        .value_kind:     by_value
      - .offset:         72
        .size:           8
        .value_kind:     by_value
      - .address_space:  global
        .offset:         80
        .size:           8
        .value_kind:     global_buffer
      - .offset:         88
        .size:           4
        .value_kind:     hidden_block_count_x
      - .offset:         92
        .size:           4
        .value_kind:     hidden_block_count_y
      - .offset:         96
        .size:           4
        .value_kind:     hidden_block_count_z
      - .offset:         100
        .size:           2
        .value_kind:     hidden_group_size_x
      - .offset:         102
        .size:           2
        .value_kind:     hidden_group_size_y
      - .offset:         104
        .size:           2
        .value_kind:     hidden_group_size_z
      - .offset:         106
        .size:           2
        .value_kind:     hidden_remainder_x
      - .offset:         108
        .size:           2
        .value_kind:     hidden_remainder_y
      - .offset:         110
        .size:           2
        .value_kind:     hidden_remainder_z
      - .offset:         128
        .size:           8
        .value_kind:     hidden_global_offset_x
      - .offset:         136
        .size:           8
        .value_kind:     hidden_global_offset_y
      - .offset:         144
        .size:           8
        .value_kind:     hidden_global_offset_z
      - .offset:         152
        .size:           2
        .value_kind:     hidden_grid_dims
    .group_segment_fixed_size: 0
    .kernarg_segment_align: 8
    .kernarg_segment_size: 344
    .language:       OpenCL C
    .language_version:
      - 2
      - 0
    .max_flat_workgroup_size: 256
    .name:           _ZN2at6native28rrelu_with_noise_cuda_kernelIN3c108BFloat16ELi2EZNS0_28_rrelu_with_noise_cuda_trainIS3_EEvRNS_6TensorERKS5_S6_RKNS2_6ScalarESB_St8optionalINS_9GeneratorEEEUlP25hiprandStatePhilox4_32_10E_EEviNS_15PhiloxCudaStateEPT_PKSJ_SK_ddRKT1_
    .private_segment_fixed_size: 0
    .sgpr_count:     19
    .sgpr_spill_count: 0
    .symbol:         _ZN2at6native28rrelu_with_noise_cuda_kernelIN3c108BFloat16ELi2EZNS0_28_rrelu_with_noise_cuda_trainIS3_EEvRNS_6TensorERKS5_S6_RKNS2_6ScalarESB_St8optionalINS_9GeneratorEEEUlP25hiprandStatePhilox4_32_10E_EEviNS_15PhiloxCudaStateEPT_PKSJ_SK_ddRKT1_.kd
    .uniform_work_group_size: 1
    .uses_dynamic_stack: false
    .vgpr_count:     43
    .vgpr_spill_count: 0
    .wavefront_size: 32
    .workgroup_processor_mode: 1
  - .args:
      - .offset:         0
        .size:           4
        .value_kind:     by_value
      - .offset:         8
        .size:           32
        .value_kind:     by_value
      - .address_space:  global
        .offset:         40
        .size:           8
        .value_kind:     global_buffer
      - .address_space:  global
        .offset:         48
        .size:           8
        .value_kind:     global_buffer
      - .address_space:  global
        .offset:         56
        .size:           8
        .value_kind:     global_buffer
      - .offset:         64
        .size:           8
        .value_kind:     by_value
      - .offset:         72
        .size:           8
        .value_kind:     by_value
      - .address_space:  global
        .offset:         80
        .size:           8
        .value_kind:     global_buffer
      - .offset:         88
        .size:           4
        .value_kind:     hidden_block_count_x
      - .offset:         92
        .size:           4
        .value_kind:     hidden_block_count_y
      - .offset:         96
        .size:           4
        .value_kind:     hidden_block_count_z
      - .offset:         100
        .size:           2
        .value_kind:     hidden_group_size_x
      - .offset:         102
        .size:           2
        .value_kind:     hidden_group_size_y
      - .offset:         104
        .size:           2
        .value_kind:     hidden_group_size_z
      - .offset:         106
        .size:           2
        .value_kind:     hidden_remainder_x
      - .offset:         108
        .size:           2
        .value_kind:     hidden_remainder_y
      - .offset:         110
        .size:           2
        .value_kind:     hidden_remainder_z
      - .offset:         128
        .size:           8
        .value_kind:     hidden_global_offset_x
      - .offset:         136
        .size:           8
        .value_kind:     hidden_global_offset_y
      - .offset:         144
        .size:           8
        .value_kind:     hidden_global_offset_z
      - .offset:         152
        .size:           2
        .value_kind:     hidden_grid_dims
    .group_segment_fixed_size: 0
    .kernarg_segment_align: 8
    .kernarg_segment_size: 344
    .language:       OpenCL C
    .language_version:
      - 2
      - 0
    .max_flat_workgroup_size: 256
    .name:           _ZN2at6native28rrelu_with_noise_cuda_kernelIN3c108BFloat16ELi4EZNS0_28_rrelu_with_noise_cuda_trainIS3_EEvRNS_6TensorERKS5_S6_RKNS2_6ScalarESB_St8optionalINS_9GeneratorEEEUlP25hiprandStatePhilox4_32_10E0_EEviNS_15PhiloxCudaStateEPT_PKSJ_SK_ddRKT1_
    .private_segment_fixed_size: 0
    .sgpr_count:     20
    .sgpr_spill_count: 0
    .symbol:         _ZN2at6native28rrelu_with_noise_cuda_kernelIN3c108BFloat16ELi4EZNS0_28_rrelu_with_noise_cuda_trainIS3_EEvRNS_6TensorERKS5_S6_RKNS2_6ScalarESB_St8optionalINS_9GeneratorEEEUlP25hiprandStatePhilox4_32_10E0_EEviNS_15PhiloxCudaStateEPT_PKSJ_SK_ddRKT1_.kd
    .uniform_work_group_size: 1
    .uses_dynamic_stack: false
    .vgpr_count:     43
    .vgpr_spill_count: 0
    .wavefront_size: 32
    .workgroup_processor_mode: 1
amdhsa.target:   amdgcn-amd-amdhsa--gfx1100
amdhsa.version:
  - 1
  - 2
...

	.end_amdgpu_metadata
